;; amdgpu-corpus repo=ROCm/rocFFT kind=compiled arch=gfx1030 opt=O3
	.text
	.amdgcn_target "amdgcn-amd-amdhsa--gfx1030"
	.amdhsa_code_object_version 6
	.protected	bluestein_single_fwd_len2160_dim1_sp_op_CI_CI ; -- Begin function bluestein_single_fwd_len2160_dim1_sp_op_CI_CI
	.globl	bluestein_single_fwd_len2160_dim1_sp_op_CI_CI
	.p2align	8
	.type	bluestein_single_fwd_len2160_dim1_sp_op_CI_CI,@function
bluestein_single_fwd_len2160_dim1_sp_op_CI_CI: ; @bluestein_single_fwd_len2160_dim1_sp_op_CI_CI
; %bb.0:
	s_load_dwordx4 s[8:11], s[4:5], 0x28
	v_mul_u32_u24_e32 v1, 0x445, v0
	s_mov_b64 s[22:23], s[2:3]
	s_mov_b64 s[20:21], s[0:1]
	v_mov_b32_e32 v6, 0
	s_add_u32 s20, s20, s7
	v_lshrrev_b32_e32 v1, 16, v1
	s_addc_u32 s21, s21, 0
	s_mov_b32 s0, exec_lo
	v_add_nc_u32_e32 v5, s6, v1
	s_waitcnt lgkmcnt(0)
	v_cmpx_gt_u64_e64 s[8:9], v[5:6]
	s_cbranch_execz .LBB0_15
; %bb.1:
	s_clause 0x1
	s_load_dwordx4 s[0:3], s[4:5], 0x18
	s_load_dwordx2 s[16:17], s[4:5], 0x0
	v_mul_lo_u16 v1, v1, 60
	v_mov_b32_e32 v6, v5
	v_sub_nc_u16 v2, v0, v1
	v_and_b32_e32 v225, 0xffff, v2
	v_lshlrev_b32_e32 v242, 3, v225
	v_or_b32_e32 v31, 0x6c0, v225
	v_or_b32_e32 v30, 0x300, v225
	s_waitcnt lgkmcnt(0)
	s_load_dwordx4 s[12:15], s[0:1], 0x0
	s_clause 0x1
	global_load_dwordx2 v[136:137], v242, s[16:17]
	global_load_dwordx2 v[134:135], v242, s[16:17] offset:1728
	v_add_co_u32 v72, s0, s16, v242
	v_add_co_ci_u32_e64 v73, null, s17, 0, s0
	v_lshlrev_b32_e32 v170, 3, v31
	v_add_co_u32 v58, vcc_lo, 0x800, v72
	v_add_co_ci_u32_e32 v59, vcc_lo, 0, v73, vcc_lo
	v_add_co_u32 v60, vcc_lo, 0x1000, v72
	v_add_co_ci_u32_e32 v61, vcc_lo, 0, v73, vcc_lo
	s_clause 0x1
	global_load_dwordx2 v[132:133], v[58:59], off offset:1408
	global_load_dwordx2 v[130:131], v[60:61], off offset:1088
	buffer_store_dword v6, off, s[20:23], 0 offset:180 ; 4-byte Folded Spill
	buffer_store_dword v7, off, s[20:23], 0 offset:184 ; 4-byte Folded Spill
	s_waitcnt lgkmcnt(0)
	v_mad_u64_u32 v[0:1], null, s14, v5, 0
	v_mad_u64_u32 v[3:4], null, s12, v225, 0
	v_add_co_u32 v62, vcc_lo, 0x1800, v72
	v_add_co_ci_u32_e32 v63, vcc_lo, 0, v73, vcc_lo
	v_mad_u64_u32 v[5:6], null, s15, v5, v[1:2]
	v_add_co_u32 v66, vcc_lo, 0x2000, v72
	v_add_co_ci_u32_e32 v67, vcc_lo, 0, v73, vcc_lo
	v_add_co_u32 v64, vcc_lo, 0x2800, v72
	v_mad_u64_u32 v[6:7], null, s13, v225, v[4:5]
	v_mov_b32_e32 v1, v5
	v_add_co_ci_u32_e32 v65, vcc_lo, 0, v73, vcc_lo
	v_mad_u64_u32 v[7:8], null, s12, v31, 0
	v_lshlrev_b64 v[0:1], 3, v[0:1]
	v_mov_b32_e32 v4, v6
	v_mad_u64_u32 v[5:6], null, s12, v30, 0
	s_mul_i32 s1, s13, 0xd8
	s_mul_hi_u32 s6, s12, 0xd8
	v_lshlrev_b64 v[3:4], 3, v[3:4]
	v_add_co_u32 v28, vcc_lo, s10, v0
	v_add_co_ci_u32_e32 v29, vcc_lo, s11, v1, vcc_lo
	s_mul_i32 s0, s12, 0xd8
	v_add_co_u32 v3, vcc_lo, v28, v3
	s_add_i32 s1, s6, s1
	v_add_co_ci_u32_e32 v4, vcc_lo, v29, v4, vcc_lo
	s_lshl_b64 s[14:15], s[0:1], 3
	v_mov_b32_e32 v0, v8
	v_mov_b32_e32 v1, v6
	v_add_co_u32 v9, vcc_lo, v3, s14
	v_add_co_ci_u32_e32 v10, vcc_lo, s15, v4, vcc_lo
	v_mad_u64_u32 v[11:12], null, s13, v31, v[0:1]
	v_add_co_u32 v12, vcc_lo, v9, s14
	v_add_co_ci_u32_e32 v13, vcc_lo, s15, v10, vcc_lo
	v_mad_u64_u32 v[0:1], null, s13, v30, v[1:2]
	v_add_co_u32 v14, vcc_lo, v12, s14
	v_add_co_ci_u32_e32 v15, vcc_lo, s15, v13, vcc_lo
	v_mov_b32_e32 v8, v11
	v_add_co_u32 v16, vcc_lo, v14, s14
	v_add_co_ci_u32_e32 v17, vcc_lo, s15, v15, vcc_lo
	v_lshlrev_b64 v[6:7], 3, v[7:8]
	v_add_co_u32 v18, vcc_lo, v16, s14
	v_add_co_ci_u32_e32 v19, vcc_lo, s15, v17, vcc_lo
	s_clause 0x1
	global_load_dwordx2 v[128:129], v[62:63], off offset:768
	global_load_dwordx2 v[122:123], v[66:67], off offset:448
	v_add_co_u32 v6, vcc_lo, v28, v6
	v_add_co_ci_u32_e32 v7, vcc_lo, v29, v7, vcc_lo
	v_add_co_u32 v20, vcc_lo, v18, s14
	v_add_co_ci_u32_e32 v21, vcc_lo, s15, v19, vcc_lo
	s_clause 0x4
	global_load_dwordx2 v[22:23], v[3:4], off
	global_load_dwordx2 v[24:25], v[9:10], off
	;; [unrolled: 1-line block ×7, first 2 shown]
	v_add_co_u32 v3, vcc_lo, v20, s14
	global_load_dwordx2 v[19:20], v[6:7], off
	v_mov_b32_e32 v6, v0
	v_add_co_ci_u32_e32 v4, vcc_lo, s15, v21, vcc_lo
	s_mul_hi_u32 s1, s12, 0xfffff8a4
	s_mul_i32 s0, s13, 0xfffff8a4
	v_lshlrev_b64 v[0:1], 3, v[5:6]
	v_mad_u64_u32 v[7:8], null, 0xd80, s12, v[3:4]
	s_sub_i32 s1, s1, s12
	s_mul_i32 s6, s13, 0xd80
	s_add_i32 s1, s1, s0
	v_add_co_u32 v0, vcc_lo, v28, v0
	v_add_co_ci_u32_e32 v1, vcc_lo, v29, v1, vcc_lo
	s_mul_i32 s0, s12, 0xfffff8a4
	v_lshlrev_b32_e32 v156, 3, v30
	v_add_nc_u32_e32 v8, s6, v8
	v_add_co_u32 v70, vcc_lo, 0x3800, v72
	s_lshl_b64 s[0:1], s[0:1], 3
	buffer_store_dword v31, off, s[20:23], 0 offset:132 ; 4-byte Folded Spill
	buffer_store_dword v30, off, s[20:23], 0 offset:72 ; 4-byte Folded Spill
	v_add_co_ci_u32_e32 v71, vcc_lo, 0, v73, vcc_lo
	s_clause 0x1
	global_load_dwordx2 v[126:127], v[64:65], off offset:128
	global_load_dwordx2 v[120:121], v170, s[16:17]
	global_load_dwordx2 v[28:29], v[0:1], off
	global_load_dwordx2 v[80:81], v156, s[16:17]
	v_add_co_u32 v0, vcc_lo, v7, s0
	v_add_co_ci_u32_e32 v1, vcc_lo, s1, v8, vcc_lo
	global_load_dwordx2 v[30:31], v[3:4], off
	global_load_dwordx2 v[124:125], v[64:65], off offset:1856
	global_load_dwordx2 v[32:33], v[7:8], off
	global_load_dwordx2 v[118:119], v[70:71], off offset:1216
	global_load_dwordx2 v[34:35], v[0:1], off
	v_add_co_u32 v0, vcc_lo, v0, s14
	v_add_co_ci_u32_e32 v1, vcc_lo, s15, v1, vcc_lo
	global_load_dwordx2 v[116:117], v242, s[16:17] offset:480
	v_add_co_u32 v3, vcc_lo, v0, s14
	v_add_co_ci_u32_e32 v4, vcc_lo, s15, v1, vcc_lo
	global_load_dwordx2 v[36:37], v[0:1], off
	v_add_co_u32 v0, vcc_lo, v3, s14
	v_add_co_ci_u32_e32 v1, vcc_lo, s15, v4, vcc_lo
	global_load_dwordx2 v[114:115], v[58:59], off offset:160
	v_add_co_u32 v5, vcc_lo, v0, s14
	v_add_co_ci_u32_e32 v6, vcc_lo, s15, v1, vcc_lo
	global_load_dwordx2 v[38:39], v[3:4], off
	global_load_dwordx2 v[112:113], v[58:59], off offset:1888
	global_load_dwordx2 v[40:41], v[0:1], off
	global_load_dwordx2 v[110:111], v[60:61], off offset:1568
	global_load_dwordx2 v[42:43], v[5:6], off
	v_add_co_u32 v0, vcc_lo, v5, s14
	v_add_co_ci_u32_e32 v1, vcc_lo, s15, v6, vcc_lo
	s_clause 0x1
	global_load_dwordx2 v[108:109], v[62:63], off offset:1248
	global_load_dwordx2 v[104:105], v[64:65], off offset:608
	v_add_co_u32 v3, vcc_lo, v0, s14
	v_add_co_ci_u32_e32 v4, vcc_lo, s15, v1, vcc_lo
	global_load_dwordx2 v[44:45], v[0:1], off
	v_add_co_u32 v0, vcc_lo, v3, s14
	v_add_co_ci_u32_e32 v1, vcc_lo, s15, v4, vcc_lo
	global_load_dwordx2 v[46:47], v[3:4], off
	v_add_co_u32 v5, vcc_lo, v0, s14
	v_add_co_ci_u32_e32 v6, vcc_lo, s15, v1, vcc_lo
	global_load_dwordx2 v[48:49], v[0:1], off
	v_add_co_u32 v3, vcc_lo, v5, s14
	v_add_co_ci_u32_e32 v4, vcc_lo, s15, v6, vcc_lo
	global_load_dwordx2 v[102:103], v[66:67], off offset:928
	v_add_co_u32 v7, vcc_lo, v3, s0
	v_add_co_ci_u32_e32 v8, vcc_lo, s1, v4, vcc_lo
	v_add_co_u32 v0, vcc_lo, v7, s14
	v_add_co_ci_u32_e32 v1, vcc_lo, s15, v8, vcc_lo
	;; [unrolled: 2-line block ×3, first 2 shown]
	global_load_dwordx2 v[106:107], v[68:69], off offset:288
	global_load_dwordx2 v[50:51], v[5:6], off
	global_load_dwordx2 v[100:101], v[68:69], off offset:2016
	global_load_dwordx2 v[52:53], v[3:4], off
	;; [unrolled: 2-line block ×3, first 2 shown]
	global_load_dwordx2 v[96:97], v242, s[16:17] offset:960
	global_load_dwordx2 v[56:57], v[0:1], off
	buffer_store_dword v58, off, s[20:23], 0 offset:48 ; 4-byte Folded Spill
	buffer_store_dword v59, off, s[20:23], 0 offset:52 ; 4-byte Folded Spill
	v_add_co_u32 v9, vcc_lo, v0, s14
	v_add_co_ci_u32_e32 v10, vcc_lo, s15, v1, vcc_lo
	v_add_nc_u32_e32 v8, 0x3000, v242
	v_add_nc_u32_e32 v7, 0x3400, v242
	global_load_dwordx2 v[94:95], v[58:59], off offset:640
	global_load_dwordx2 v[58:59], v[9:10], off
	buffer_store_dword v60, off, s[20:23], 0 offset:40 ; 4-byte Folded Spill
	buffer_store_dword v61, off, s[20:23], 0 offset:44 ; 4-byte Folded Spill
	v_mad_u64_u32 v[5:6], null, 0xd80, s12, v[9:10]
	s_waitcnt vmcnt(40)
	v_mul_f32_e32 v21, v23, v137
	s_waitcnt vmcnt(31)
	v_mul_f32_e32 v75, v19, v121
	;; [unrolled: 2-line block ×3, first 2 shown]
	v_mul_f32_e32 v76, v28, v81
	v_mul_f32_e32 v77, v24, v135
	v_fmac_f32_e32 v21, v22, v136
	v_add_nc_u32_e32 v6, s6, v6
	v_add_co_u32 v0, vcc_lo, v5, s14
	v_fmac_f32_e32 v74, v28, v80
	v_mul_f32_e32 v28, v14, v131
	v_add_co_ci_u32_e32 v1, vcc_lo, s15, v6, vcc_lo
	v_add_co_u32 v3, vcc_lo, v0, s14
	v_fmac_f32_e32 v28, v13, v130
	v_add_co_ci_u32_e32 v4, vcc_lo, s15, v1, vcc_lo
	v_add_nc_u32_e32 v10, 0x1400, v242
	v_add_nc_u32_e32 v9, 0x2000, v242
	global_load_dwordx2 v[92:93], v[60:61], off offset:320
	global_load_dwordx2 v[60:61], v[5:6], off
	buffer_store_dword v62, off, s[20:23], 0 offset:24 ; 4-byte Folded Spill
	buffer_store_dword v63, off, s[20:23], 0 offset:28 ; 4-byte Folded Spill
	v_add_co_u32 v5, vcc_lo, v3, s14
	v_add_co_ci_u32_e32 v6, vcc_lo, s15, v4, vcc_lo
	global_load_dwordx2 v[90:91], v[62:63], off offset:1728
	global_load_dwordx2 v[62:63], v[0:1], off
	buffer_store_dword v64, off, s[20:23], 0 ; 4-byte Folded Spill
	buffer_store_dword v65, off, s[20:23], 0 offset:4 ; 4-byte Folded Spill
	global_load_dwordx2 v[86:87], v[64:65], off offset:1088
	buffer_store_dword v66, off, s[20:23], 0 offset:16 ; 4-byte Folded Spill
	buffer_store_dword v67, off, s[20:23], 0 offset:20 ; 4-byte Folded Spill
	global_load_dwordx2 v[88:89], v[66:67], off offset:1408
	global_load_dwordx2 v[64:65], v[3:4], off
	global_load_dwordx2 v[66:67], v[5:6], off
	buffer_store_dword v68, off, s[20:23], 0 offset:32 ; 4-byte Folded Spill
	buffer_store_dword v69, off, s[20:23], 0 offset:36 ; 4-byte Folded Spill
	v_add_co_u32 v3, vcc_lo, v5, s14
	v_add_co_ci_u32_e32 v4, vcc_lo, s15, v6, vcc_lo
	v_add_co_u32 v5, vcc_lo, 0x4000, v72
	global_load_dwordx2 v[78:79], v[68:69], off offset:768
	buffer_store_dword v72, off, s[20:23], 0 offset:56 ; 4-byte Folded Spill
	buffer_store_dword v73, off, s[20:23], 0 offset:60 ; 4-byte Folded Spill
	global_load_dwordx2 v[68:69], v[3:4], off
	v_mul_f32_e32 v72, v20, v121
	v_fmac_f32_e32 v72, v19, v120
	v_mul_f32_e32 v19, v12, v133
	v_fmac_f32_e32 v19, v11, v132
	v_add_co_ci_u32_e32 v6, vcc_lo, 0, v73, vcc_lo
	buffer_store_dword v5, off, s[20:23], 0 offset:64 ; 4-byte Folded Spill
	buffer_store_dword v6, off, s[20:23], 0 offset:68 ; 4-byte Folded Spill
	v_add_co_u32 v0, vcc_lo, v3, s14
	v_add_co_ci_u32_e32 v1, vcc_lo, s15, v4, vcc_lo
	v_mul_f32_e32 v73, v22, v137
	v_add_nc_u32_e32 v4, 0x800, v242
	v_add_nc_u32_e32 v3, 0xc00, v242
	v_cmp_gt_u16_e32 vcc_lo, 36, v2
	global_load_dwordx2 v[82:83], v[5:6], off offset:128
	buffer_store_dword v70, off, s[20:23], 0 offset:8 ; 4-byte Folded Spill
	buffer_store_dword v71, off, s[20:23], 0 offset:12 ; 4-byte Folded Spill
	v_add_nc_u32_e32 v6, 0x1800, v242
	v_add_nc_u32_e32 v5, 0x2800, v242
	global_load_dwordx2 v[84:85], v[70:71], off offset:448
	global_load_dwordx2 v[70:71], v[0:1], off
	s_load_dwordx2 s[6:7], s[4:5], 0x38
	s_load_dwordx4 s[8:11], s[2:3], 0x0
	buffer_store_dword v136, off, s[20:23], 0 offset:324 ; 4-byte Folded Spill
	buffer_store_dword v137, off, s[20:23], 0 offset:328 ; 4-byte Folded Spill
	;; [unrolled: 1-line block ×6, first 2 shown]
	v_fma_f32 v22, v23, v136, -v73
	v_mul_f32_e32 v23, v25, v135
	v_fma_f32 v73, v20, v120, -v75
	v_mul_f32_e32 v20, v11, v133
	;; [unrolled: 2-line block ×3, first 2 shown]
	v_fmac_f32_e32 v23, v24, v134
	buffer_store_dword v134, off, s[20:23], 0 offset:316 ; 4-byte Folded Spill
	buffer_store_dword v135, off, s[20:23], 0 offset:320 ; 4-byte Folded Spill
	ds_write_b64 v242, v[72:73] offset:13824
	buffer_store_dword v132, off, s[20:23], 0 offset:308 ; 4-byte Folded Spill
	buffer_store_dword v133, off, s[20:23], 0 offset:312 ; 4-byte Folded Spill
	v_fmac_f32_e32 v11, v15, v128
	v_fma_f32 v24, v25, v134, -v77
	v_mul_f32_e32 v25, v13, v131
	buffer_store_dword v130, off, s[20:23], 0 offset:300 ; 4-byte Folded Spill
	buffer_store_dword v131, off, s[20:23], 0 offset:304 ; 4-byte Folded Spill
	v_fma_f32 v20, v12, v132, -v20
	v_mul_f32_e32 v13, v18, v123
	ds_write_b64 v242, v[23:24] offset:1728
	ds_write_b64 v242, v[19:20] offset:3456
	v_mul_f32_e32 v12, v15, v129
	v_mul_f32_e32 v15, v27, v127
	v_fmac_f32_e32 v13, v17, v122
	v_mul_f32_e32 v19, v26, v127
	s_waitcnt vmcnt(20)
	v_mul_f32_e32 v23, v51, v101
	v_mul_f32_e32 v20, v44, v103
	v_fmac_f32_e32 v15, v26, v126
	v_mul_f32_e32 v24, v48, v107
	s_waitcnt vmcnt(18)
	v_mul_f32_e32 v26, v52, v99
	v_fmac_f32_e32 v23, v50, v100
	v_fma_f32 v29, v14, v130, -v25
	v_mul_f32_e32 v14, v17, v123
	v_mul_f32_e32 v17, v31, v125
	;; [unrolled: 1-line block ×3, first 2 shown]
	ds_write_b64 v242, v[28:29] offset:5184
	buffer_store_dword v128, off, s[20:23], 0 offset:292 ; 4-byte Folded Spill
	buffer_store_dword v129, off, s[20:23], 0 offset:296 ; 4-byte Folded Spill
	;; [unrolled: 1-line block ×6, first 2 shown]
	v_fmac_f32_e32 v17, v30, v124
	s_waitcnt vmcnt(14)
	v_mul_f32_e32 v29, v57, v95
	v_mul_f32_e32 v28, v54, v97
	v_fmac_f32_e32 v29, v56, v94
	v_fma_f32 v12, v16, v128, -v12
	v_fma_f32 v14, v18, v122, -v14
	;; [unrolled: 1-line block ×3, first 2 shown]
	ds_write_b64 v242, v[11:12] offset:6912
	ds_write_b64 v242, v[13:14] offset:8640
	v_mul_f32_e32 v11, v33, v119
	v_mul_f32_e32 v13, v35, v117
	;; [unrolled: 1-line block ×3, first 2 shown]
	ds_write_b64 v242, v[15:16] offset:10368
	v_mul_f32_e32 v14, v32, v119
	buffer_store_dword v124, off, s[20:23], 0 offset:276 ; 4-byte Folded Spill
	buffer_store_dword v125, off, s[20:23], 0 offset:280 ; 4-byte Folded Spill
	v_fmac_f32_e32 v11, v32, v118
	buffer_store_dword v118, off, s[20:23], 0 offset:252 ; 4-byte Folded Spill
	buffer_store_dword v119, off, s[20:23], 0 offset:256 ; 4-byte Folded Spill
	v_mul_f32_e32 v15, v34, v117
	v_fmac_f32_e32 v13, v34, v116
	buffer_store_dword v116, off, s[20:23], 0 offset:244 ; 4-byte Folded Spill
	buffer_store_dword v117, off, s[20:23], 0 offset:248 ; 4-byte Folded Spill
	v_mul_f32_e32 v16, v36, v115
	v_mul_f32_e32 v19, v45, v103
	;; [unrolled: 1-line block ×4, first 2 shown]
	s_waitcnt vmcnt(12)
	v_mul_f32_e32 v32, v58, v93
	v_fmac_f32_e32 v19, v44, v102
	v_fmac_f32_e32 v27, v54, v96
	v_fma_f32 v18, v31, v124, -v12
	v_mul_f32_e32 v31, v59, v93
	v_fma_f32 v12, v33, v118, -v14
	v_fma_f32 v14, v35, v116, -v15
	ds_write_b64 v242, v[17:18] offset:12096
	v_mul_f32_e32 v15, v37, v115
	ds_write_b64 v242, v[11:12] offset:15552
	ds_write2_b64 v242, v[21:22], v[13:14] offset1:60
	v_mul_f32_e32 v11, v39, v113
	v_mul_f32_e32 v13, v41, v111
	v_fmac_f32_e32 v15, v36, v114
	buffer_store_dword v114, off, s[20:23], 0 offset:236 ; 4-byte Folded Spill
	buffer_store_dword v115, off, s[20:23], 0 offset:240 ; 4-byte Folded Spill
	v_mul_f32_e32 v12, v38, v113
	v_fmac_f32_e32 v11, v38, v112
	v_mul_f32_e32 v14, v40, v111
	buffer_store_dword v112, off, s[20:23], 0 offset:228 ; 4-byte Folded Spill
	buffer_store_dword v113, off, s[20:23], 0 offset:232 ; 4-byte Folded Spill
	v_fmac_f32_e32 v13, v40, v110
	buffer_store_dword v110, off, s[20:23], 0 offset:220 ; 4-byte Folded Spill
	buffer_store_dword v111, off, s[20:23], 0 offset:224 ; 4-byte Folded Spill
	v_mul_f32_e32 v17, v43, v109
	v_mul_f32_e32 v18, v42, v109
	;; [unrolled: 1-line block ×3, first 2 shown]
	v_fmac_f32_e32 v31, v58, v92
	v_fmac_f32_e32 v17, v42, v108
	buffer_store_dword v108, off, s[20:23], 0 offset:212 ; 4-byte Folded Spill
	buffer_store_dword v109, off, s[20:23], 0 offset:216 ; 4-byte Folded Spill
	v_fmac_f32_e32 v21, v46, v104
	v_fma_f32 v16, v37, v114, -v16
	v_fma_f32 v12, v39, v112, -v12
	;; [unrolled: 1-line block ×3, first 2 shown]
	ds_write2_b64 v10, v[13:14], v[74:75] offset0:68 offset1:128
	v_mul_f32_e32 v13, v49, v107
	buffer_store_dword v102, off, s[20:23], 0 offset:188 ; 4-byte Folded Spill
	buffer_store_dword v103, off, s[20:23], 0 offset:192 ; 4-byte Folded Spill
	v_mul_f32_e32 v14, v46, v105
	buffer_store_dword v104, off, s[20:23], 0 offset:196 ; 4-byte Folded Spill
	buffer_store_dword v105, off, s[20:23], 0 offset:200 ; 4-byte Folded Spill
	v_fma_f32 v18, v43, v108, -v18
	v_fmac_f32_e32 v13, v48, v106
	buffer_store_dword v106, off, s[20:23], 0 offset:204 ; 4-byte Folded Spill
	buffer_store_dword v107, off, s[20:23], 0 offset:208 ; 4-byte Folded Spill
	;; [unrolled: 1-line block ×8, first 2 shown]
	v_fma_f32 v20, v45, v102, -v20
	v_fma_f32 v22, v47, v104, -v14
	;; [unrolled: 1-line block ×4, first 2 shown]
	v_mul_f32_e32 v25, v53, v99
	v_fma_f32 v28, v55, v96, -v28
	v_fma_f32 v30, v57, v94, -v30
	v_fmac_f32_e32 v25, v52, v98
	buffer_store_dword v98, off, s[20:23], 0 offset:160 ; 4-byte Folded Spill
	buffer_store_dword v99, off, s[20:23], 0 offset:164 ; 4-byte Folded Spill
	ds_write_b64 v242, v[27:28] offset:960
	ds_write2_b64 v4, v[15:16], v[29:30] offset0:20 offset1:80
	buffer_store_dword v92, off, s[20:23], 0 offset:136 ; 4-byte Folded Spill
	buffer_store_dword v93, off, s[20:23], 0 offset:140 ; 4-byte Folded Spill
	s_waitcnt vmcnt(10)
	v_mul_f32_e32 v15, v61, v91
	s_waitcnt vmcnt(7)
	v_mul_f32_e32 v27, v63, v89
	v_mul_f32_e32 v16, v60, v91
	;; [unrolled: 1-line block ×3, first 2 shown]
	s_waitcnt vmcnt(6)
	v_mul_f32_e32 v29, v65, v87
	v_fmac_f32_e32 v15, v60, v90
	v_fmac_f32_e32 v27, v62, v88
	;; [unrolled: 1-line block ×3, first 2 shown]
	v_fma_f32 v26, v53, v98, -v26
	v_fma_f32 v32, v59, v92, -v32
	ds_write2_b64 v3, v[11:12], v[31:32] offset0:108 offset1:168
	buffer_store_dword v90, off, s[20:23], 0 offset:124 ; 4-byte Folded Spill
	buffer_store_dword v91, off, s[20:23], 0 offset:128 ; 4-byte Folded Spill
	buffer_store_dword v88, off, s[20:23], 0 offset:116 ; 4-byte Folded Spill
	buffer_store_dword v89, off, s[20:23], 0 offset:120 ; 4-byte Folded Spill
	v_mul_f32_e32 v3, v64, v87
	s_waitcnt vmcnt(1)
	v_mul_f32_e32 v11, v68, v85
	s_waitcnt vmcnt(0)
	v_mul_f32_e32 v12, v70, v83
	v_fma_f32 v16, v61, v90, -v16
	v_fma_f32 v28, v63, v88, -v28
	ds_write2_b64 v6, v[17:18], v[15:16] offset0:156 offset1:216
	ds_write2_b64 v9, v[19:20], v[27:28] offset0:116 offset1:176
	buffer_store_dword v86, off, s[20:23], 0 offset:108 ; 4-byte Folded Spill
	buffer_store_dword v87, off, s[20:23], 0 offset:112 ; 4-byte Folded Spill
	v_mul_f32_e32 v15, v67, v79
	v_mul_f32_e32 v17, v69, v85
	v_mul_f32_e32 v19, v71, v83
	v_fmac_f32_e32 v15, v66, v78
	v_fmac_f32_e32 v17, v68, v84
	;; [unrolled: 1-line block ×3, first 2 shown]
	v_fma_f32 v30, v65, v86, -v3
	v_mul_f32_e32 v3, v66, v79
	buffer_store_dword v78, off, s[20:23], 0 offset:76 ; 4-byte Folded Spill
	buffer_store_dword v79, off, s[20:23], 0 offset:80 ; 4-byte Folded Spill
	;; [unrolled: 1-line block ×6, first 2 shown]
	v_fma_f32 v16, v67, v78, -v3
	v_fma_f32 v18, v69, v84, -v11
	v_add_nc_u32_e32 v11, 0x3c00, v242
	v_fma_f32 v20, v71, v82, -v12
	ds_write2_b64 v5, v[21:22], v[29:30] offset0:76 offset1:136
	ds_write2_b64 v8, v[13:14], v[15:16] offset0:36 offset1:96
	ds_write2_b64 v7, v[23:24], v[17:18] offset0:124 offset1:184
	ds_write2_b64 v11, v[25:26], v[19:20] offset0:84 offset1:144
	s_and_saveexec_b32 s2, vcc_lo
	s_cbranch_execz .LBB0_3
; %bb.2:
	s_clause 0x1
	buffer_load_dword v14, off, s[20:23], 0 offset:56
	buffer_load_dword v15, off, s[20:23], 0 offset:60
	v_add_co_u32 v0, s0, v0, s0
	v_add_co_ci_u32_e64 v1, s0, s1, v1, s0
	v_add_nc_u32_e32 v7, 0x500, v242
	v_add_co_u32 v2, s0, v0, s14
	v_add_co_ci_u32_e64 v3, s0, s15, v1, s0
	v_add_nc_u32_e32 v52, 0x1200, v242
	;; [unrolled: 3-line block ×3, first 2 shown]
	s_waitcnt vmcnt(0)
	global_load_dwordx2 v[14:15], v[14:15], off offset:1440
	global_load_dwordx2 v[0:1], v[0:1], off
	global_load_dwordx2 v[2:3], v[2:3], off
	;; [unrolled: 1-line block ×3, first 2 shown]
	s_clause 0x1
	buffer_load_dword v18, off, s[20:23], 0 offset:48
	buffer_load_dword v19, off, s[20:23], 0 offset:52
	v_add_co_u32 v12, s0, v12, s14
	v_add_co_ci_u32_e64 v13, s0, s15, v13, s0
	v_add_co_u32 v22, s0, v12, s14
	v_add_co_ci_u32_e64 v23, s0, s15, v13, s0
	v_add_co_u32 v24, s0, v22, s14
	v_add_co_ci_u32_e64 v25, s0, s15, v23, s0
	v_add_co_u32 v26, s0, v24, s14
	v_add_co_ci_u32_e64 v27, s0, s15, v25, s0
	v_add_co_u32 v32, s0, v26, s14
	v_add_co_ci_u32_e64 v33, s0, s15, v27, s0
	s_waitcnt vmcnt(4)
	v_mul_f32_e32 v48, v1, v15
	v_mul_f32_e32 v15, v0, v15
	s_waitcnt vmcnt(0)
	global_load_dwordx2 v[18:19], v[18:19], off offset:1120
	s_clause 0x1
	buffer_load_dword v20, off, s[20:23], 0 offset:40
	buffer_load_dword v21, off, s[20:23], 0 offset:44
	global_load_dwordx2 v[12:13], v[12:13], off
	global_load_dwordx2 v[22:23], v[22:23], off
	v_fmac_f32_e32 v48, v0, v14
	v_fma_f32 v49, v1, v14, -v15
	s_waitcnt vmcnt(4)
	v_mul_f32_e32 v50, v3, v19
	s_waitcnt vmcnt(2)
	global_load_dwordx2 v[20:21], v[20:21], off offset:800
	s_clause 0x1
	buffer_load_dword v28, off, s[20:23], 0 offset:24
	buffer_load_dword v29, off, s[20:23], 0 offset:28
	v_mul_f32_e32 v19, v2, v19
	v_fmac_f32_e32 v50, v2, v18
	v_fma_f32 v51, v3, v18, -v19
	s_waitcnt vmcnt(2)
	v_mul_f32_e32 v0, v17, v21
	s_waitcnt vmcnt(0)
	global_load_dwordx2 v[28:29], v[28:29], off offset:480
	s_clause 0x1
	buffer_load_dword v34, off, s[20:23], 0 offset:16
	buffer_load_dword v35, off, s[20:23], 0 offset:20
	v_mul_f32_e32 v1, v16, v21
	v_fmac_f32_e32 v0, v16, v20
	v_fma_f32 v1, v17, v20, -v1
	s_waitcnt vmcnt(2)
	v_mul_f32_e32 v2, v13, v29
	s_waitcnt vmcnt(0)
	global_load_dwordx2 v[30:31], v[34:35], off offset:160
	global_load_dwordx2 v[24:25], v[24:25], off
	global_load_dwordx2 v[26:27], v[26:27], off
	global_load_dwordx2 v[34:35], v[34:35], off offset:1888
	s_clause 0x1
	buffer_load_dword v36, off, s[20:23], 0
	buffer_load_dword v37, off, s[20:23], 0 offset:4
	v_mul_f32_e32 v3, v12, v29
	v_fmac_f32_e32 v2, v12, v28
	s_waitcnt vmcnt(0)
	global_load_dwordx2 v[36:37], v[36:37], off offset:1568
	global_load_dwordx2 v[38:39], v[32:33], off
	s_clause 0x1
	buffer_load_dword v40, off, s[20:23], 0 offset:32
	buffer_load_dword v41, off, s[20:23], 0 offset:36
	v_add_co_u32 v32, s0, v32, s14
	v_add_co_ci_u32_e64 v33, s0, s15, v33, s0
	v_mul_f32_e32 v14, v23, v31
	v_add_co_u32 v42, s0, v32, s14
	v_add_co_ci_u32_e64 v43, s0, s15, v33, s0
	global_load_dwordx2 v[32:33], v[32:33], off
	v_mul_f32_e32 v15, v22, v31
	v_fma_f32 v3, v13, v28, -v3
	v_mul_f32_e32 v12, v25, v35
	v_mul_f32_e32 v13, v24, v35
	v_fmac_f32_e32 v14, v22, v30
	v_fma_f32 v15, v23, v30, -v15
	v_fmac_f32_e32 v12, v24, v34
	v_fma_f32 v13, v25, v34, -v13
	v_add_nc_u32_e32 v24, 0x3b00, v242
	s_waitcnt vmcnt(4)
	v_mul_f32_e32 v16, v27, v37
	v_mul_f32_e32 v17, v26, v37
	s_waitcnt vmcnt(1)
	global_load_dwordx2 v[40:41], v[40:41], off offset:1248
	s_clause 0x1
	buffer_load_dword v44, off, s[20:23], 0 offset:8
	buffer_load_dword v45, off, s[20:23], 0 offset:12
	v_fmac_f32_e32 v16, v26, v36
	v_fma_f32 v17, v27, v36, -v17
	s_waitcnt vmcnt(2)
	v_mul_f32_e32 v18, v39, v41
	s_waitcnt vmcnt(0)
	global_load_dwordx2 v[44:45], v[44:45], off offset:928
	s_clause 0x1
	buffer_load_dword v46, off, s[20:23], 0 offset:64
	buffer_load_dword v47, off, s[20:23], 0 offset:68
	v_mul_f32_e32 v19, v38, v41
	s_waitcnt vmcnt(0)
	global_load_dwordx2 v[46:47], v[46:47], off offset:608
	global_load_dwordx2 v[42:43], v[42:43], off
	v_mul_f32_e32 v20, v33, v45
	v_mul_f32_e32 v21, v32, v45
	v_fmac_f32_e32 v18, v38, v40
	v_fma_f32 v19, v39, v40, -v19
	v_fmac_f32_e32 v20, v32, v44
	v_fma_f32 v21, v33, v44, -v21
	s_waitcnt vmcnt(0)
	v_mul_f32_e32 v22, v43, v47
	v_mul_f32_e32 v23, v42, v47
	v_fmac_f32_e32 v22, v42, v46
	v_fma_f32 v23, v43, v46, -v23
	ds_write2_b64 v7, v[48:49], v[50:51] offset0:20 offset1:236
	ds_write2_b64 v52, v[0:1], v[2:3] offset0:36 offset1:252
	ds_write2_b64 v9, v[14:15], v[12:13] offset0:20 offset1:236
	ds_write2_b64 v53, v[16:17], v[18:19] offset0:4 offset1:220
	ds_write2_b64 v24, v[20:21], v[22:23] offset0:20 offset1:236
.LBB0_3:
	s_or_b32 exec_lo, exec_lo, s2
	v_add_nc_u32_e32 v7, 0x1000, v242
	v_add_nc_u32_e32 v12, 0x1c00, v242
	s_waitcnt lgkmcnt(0)
	s_waitcnt_vscnt null, 0x0
	s_barrier
	buffer_gl0_inv
	ds_read2_b64 v[80:83], v242 offset1:60
	ds_read2_b64 v[0:3], v242 offset0:120 offset1:216
	ds_read2_b64 v[84:87], v4 offset0:176 offset1:236
	;; [unrolled: 1-line block ×4, first 2 shown]
	v_add_nc_u32_e32 v6, 0x3800, v242
	ds_read2_b64 v[68:71], v12 offset0:88 offset1:184
	ds_read2_b64 v[92:95], v5 offset0:16 offset1:76
	;; [unrolled: 1-line block ×10, first 2 shown]
	s_load_dwordx2 s[2:3], s[4:5], 0x8
                                        ; implicit-def: $vgpr8
                                        ; implicit-def: $vgpr12
                                        ; implicit-def: $vgpr16
                                        ; implicit-def: $vgpr20
                                        ; implicit-def: $vgpr24
	s_and_saveexec_b32 s0, vcc_lo
	s_cbranch_execz .LBB0_5
; %bb.4:
	v_add_nc_u32_e32 v8, 0x500, v242
	v_add_nc_u32_e32 v12, 0x1200, v242
	;; [unrolled: 1-line block ×5, first 2 shown]
	ds_read2_b64 v[8:11], v8 offset0:20 offset1:236
	ds_read2_b64 v[12:15], v12 offset0:36 offset1:252
	;; [unrolled: 1-line block ×5, first 2 shown]
.LBB0_5:
	s_or_b32 exec_lo, exec_lo, s0
	s_waitcnt lgkmcnt(0)
	v_add_f32_e32 v44, v88, v92
	v_add_f32_e32 v45, v80, v84
	v_sub_f32_e32 v46, v85, v97
	v_add_f32_e32 v51, v84, v96
	v_add_co_u32 v148, s0, v225, 60
	v_fma_f32 v47, -0.5, v44, v80
	v_add_f32_e32 v45, v45, v88
	v_add_co_ci_u32_e64 v44, null, 0, 0, s0
	v_sub_f32_e32 v44, v89, v93
	v_fmamk_f32 v48, v46, 0x3f737871, v47
	v_sub_f32_e32 v49, v84, v88
	v_sub_f32_e32 v50, v96, v92
	v_add_f32_e32 v45, v45, v92
	v_fma_f32 v51, -0.5, v51, v80
	v_fmac_f32_e32 v47, 0xbf737871, v46
	v_add_f32_e32 v53, v81, v85
	v_fmac_f32_e32 v48, 0x3f167918, v44
	v_add_f32_e32 v49, v49, v50
	v_add_f32_e32 v50, v45, v96
	v_fmamk_f32 v60, v44, 0xbf737871, v51
	v_sub_f32_e32 v45, v88, v84
	v_sub_f32_e32 v52, v92, v96
	v_fmac_f32_e32 v47, 0xbf167918, v44
	v_add_f32_e32 v54, v89, v93
	v_fmac_f32_e32 v51, 0x3f737871, v44
	v_add_f32_e32 v44, v53, v89
	v_fmac_f32_e32 v60, 0x3f167918, v46
	v_add_f32_e32 v45, v45, v52
	v_fma_f32 v63, -0.5, v54, v81
	v_sub_f32_e32 v52, v84, v96
	v_fmac_f32_e32 v51, 0xbf167918, v46
	v_add_f32_e32 v44, v44, v93
	v_add_f32_e32 v46, v85, v97
	v_sub_f32_e32 v54, v85, v89
	v_sub_f32_e32 v55, v97, v93
	v_fmac_f32_e32 v48, 0x3e9e377a, v49
	v_fmac_f32_e32 v47, 0x3e9e377a, v49
	;; [unrolled: 1-line block ×3, first 2 shown]
	v_fmamk_f32 v49, v52, 0xbf737871, v63
	v_sub_f32_e32 v53, v88, v92
	v_fmac_f32_e32 v51, 0x3e9e377a, v45
	v_fma_f32 v61, -0.5, v46, v81
	v_add_f32_e32 v80, v44, v97
	v_add_f32_e32 v44, v54, v55
	v_fmac_f32_e32 v63, 0x3f737871, v52
	v_sub_f32_e32 v45, v89, v85
	v_sub_f32_e32 v46, v93, v97
	v_add_f32_e32 v54, v2, v66
	v_fmac_f32_e32 v49, 0xbf167918, v53
	v_fmamk_f32 v81, v53, 0x3f737871, v61
	v_fmac_f32_e32 v63, 0x3f167918, v53
	v_add_f32_e32 v45, v45, v46
	v_fmac_f32_e32 v61, 0xbf737871, v53
	v_add_f32_e32 v46, v54, v70
	v_add_f32_e32 v53, v70, v74
	v_fmac_f32_e32 v49, 0x3e9e377a, v44
	v_fmac_f32_e32 v81, 0xbf167918, v52
	;; [unrolled: 1-line block ×4, first 2 shown]
	v_add_f32_e32 v44, v46, v74
	v_fma_f32 v46, -0.5, v53, v2
	v_add_f32_e32 v52, v66, v78
	v_sub_f32_e32 v53, v67, v79
	v_fmac_f32_e32 v81, 0x3e9e377a, v45
	v_fmac_f32_e32 v61, 0x3e9e377a, v45
	v_add_f32_e32 v62, v44, v78
	v_sub_f32_e32 v44, v71, v75
	v_fma_f32 v2, -0.5, v52, v2
	v_fmamk_f32 v45, v53, 0x3f737871, v46
	v_sub_f32_e32 v52, v66, v70
	v_sub_f32_e32 v54, v78, v74
	v_fmac_f32_e32 v46, 0xbf737871, v53
	v_fmamk_f32 v55, v44, 0xbf737871, v2
	v_fmac_f32_e32 v45, 0x3f167918, v44
	v_sub_f32_e32 v56, v70, v66
	v_add_f32_e32 v52, v52, v54
	v_fmac_f32_e32 v46, 0xbf167918, v44
	v_sub_f32_e32 v57, v74, v78
	v_fmac_f32_e32 v2, 0x3f737871, v44
	v_add_f32_e32 v44, v71, v75
	v_fmac_f32_e32 v45, 0x3e9e377a, v52
	v_fmac_f32_e32 v46, 0x3e9e377a, v52
	v_add_f32_e32 v52, v67, v79
	v_fmac_f32_e32 v55, 0x3f167918, v53
	v_add_f32_e32 v54, v56, v57
	;; [unrolled: 2-line block ×3, first 2 shown]
	v_fma_f32 v44, -0.5, v44, v3
	v_sub_f32_e32 v57, v70, v74
	v_fma_f32 v3, -0.5, v52, v3
	v_sub_f32_e32 v56, v66, v78
	v_sub_f32_e32 v58, v71, v67
	;; [unrolled: 1-line block ×3, first 2 shown]
	v_fmac_f32_e32 v55, 0x3e9e377a, v54
	v_fmamk_f32 v59, v57, 0x3f737871, v3
	v_fmac_f32_e32 v2, 0x3e9e377a, v54
	v_add_f32_e32 v52, v53, v71
	v_fmamk_f32 v53, v56, 0xbf737871, v44
	v_sub_f32_e32 v54, v67, v71
	v_sub_f32_e32 v67, v79, v75
	v_fmac_f32_e32 v3, 0xbf737871, v57
	v_fmac_f32_e32 v59, 0xbf167918, v56
	v_add_f32_e32 v58, v58, v66
	v_fmac_f32_e32 v44, 0x3f737871, v56
	v_fmac_f32_e32 v53, 0xbf167918, v57
	v_add_f32_e32 v54, v54, v67
	v_fmac_f32_e32 v3, 0x3f167918, v56
	v_fmac_f32_e32 v59, 0x3e9e377a, v58
	;; [unrolled: 1-line block ×3, first 2 shown]
	v_mul_f32_e32 v66, 0x3f4f1bbd, v45
	v_fmac_f32_e32 v53, 0x3e9e377a, v54
	v_fmac_f32_e32 v3, 0x3e9e377a, v58
	v_mul_f32_e32 v67, 0x3f737871, v59
	v_mul_f32_e32 v56, 0x3e9e377a, v2
	v_fmac_f32_e32 v44, 0x3e9e377a, v54
	v_add_f32_e32 v52, v52, v75
	v_fmac_f32_e32 v66, 0x3f167918, v53
	v_fmac_f32_e32 v67, 0x3e9e377a, v55
	v_fma_f32 v71, 0x3f737871, v3, -v56
	v_mul_f32_e32 v75, 0xbf167918, v45
	v_mul_f32_e32 v78, 0xbf737871, v55
	;; [unrolled: 1-line block ×4, first 2 shown]
	v_add_f32_e32 v70, v52, v79
	v_mul_f32_e32 v57, 0x3f4f1bbd, v46
	v_add_f32_e32 v52, v50, v62
	v_add_f32_e32 v54, v48, v66
	;; [unrolled: 1-line block ×3, first 2 shown]
	v_fmac_f32_e32 v75, 0x3f4f1bbd, v53
	v_fmac_f32_e32 v78, 0x3e9e377a, v59
	v_fma_f32 v2, 0xbf737871, v2, -v3
	v_fma_f32 v3, 0xbf167918, v46, -v45
	v_sub_f32_e32 v46, v50, v62
	v_sub_f32_e32 v48, v48, v66
	v_add_f32_e32 v66, v90, v94
	v_sub_f32_e32 v50, v60, v67
	v_add_f32_e32 v67, v82, v86
	v_add_f32_e32 v58, v51, v71
	v_fma_f32 v74, 0x3f167918, v44, -v57
	v_add_f32_e32 v55, v49, v75
	v_add_f32_e32 v57, v81, v78
	v_sub_f32_e32 v60, v51, v71
	v_fma_f32 v66, -0.5, v66, v82
	v_sub_f32_e32 v71, v87, v99
	v_sub_f32_e32 v49, v49, v75
	;; [unrolled: 1-line block ×3, first 2 shown]
	v_add_f32_e32 v67, v67, v90
	v_sub_f32_e32 v75, v86, v90
	v_sub_f32_e32 v78, v98, v94
	v_add_f32_e32 v79, v86, v98
	v_add_f32_e32 v44, v47, v74
	;; [unrolled: 1-line block ×4, first 2 shown]
	v_sub_f32_e32 v62, v47, v74
	v_sub_f32_e32 v47, v80, v70
	v_fmamk_f32 v70, v71, 0x3f737871, v66
	v_sub_f32_e32 v74, v91, v95
	v_sub_f32_e32 v61, v61, v2
	v_add_f32_e32 v2, v67, v94
	v_add_f32_e32 v67, v75, v78
	v_fma_f32 v75, -0.5, v79, v82
	v_fmac_f32_e32 v66, 0xbf737871, v71
	v_add_f32_e32 v80, v83, v87
	v_add_f32_e32 v45, v63, v3
	v_fmac_f32_e32 v70, 0x3f167918, v74
	v_sub_f32_e32 v63, v63, v3
	v_fmamk_f32 v3, v74, 0xbf737871, v75
	v_sub_f32_e32 v78, v90, v86
	v_sub_f32_e32 v79, v94, v98
	v_fmac_f32_e32 v66, 0xbf167918, v74
	v_add_f32_e32 v81, v91, v95
	v_fmac_f32_e32 v75, 0x3f737871, v74
	v_add_f32_e32 v74, v80, v91
	v_fmac_f32_e32 v70, 0x3e9e377a, v67
	v_fmac_f32_e32 v3, 0x3f167918, v71
	v_add_f32_e32 v78, v78, v79
	v_fma_f32 v82, -0.5, v81, v83
	v_sub_f32_e32 v79, v86, v98
	v_fmac_f32_e32 v66, 0x3e9e377a, v67
	v_fmac_f32_e32 v75, 0xbf167918, v71
	v_add_f32_e32 v67, v74, v95
	v_add_f32_e32 v74, v87, v99
	v_sub_f32_e32 v81, v87, v91
	v_sub_f32_e32 v84, v99, v95
	v_fmac_f32_e32 v3, 0x3e9e377a, v78
	v_fmamk_f32 v71, v79, 0xbf737871, v82
	v_sub_f32_e32 v80, v90, v94
	v_fmac_f32_e32 v75, 0x3e9e377a, v78
	v_fmac_f32_e32 v83, -0.5, v74
	v_add_f32_e32 v74, v81, v84
	v_fmac_f32_e32 v82, 0x3f737871, v79
	v_sub_f32_e32 v78, v91, v87
	v_sub_f32_e32 v81, v95, v99
	v_add_f32_e32 v84, v4, v36
	v_fmac_f32_e32 v71, 0xbf167918, v80
	v_fmamk_f32 v97, v80, 0x3f737871, v83
	v_fmac_f32_e32 v82, 0x3f167918, v80
	v_add_f32_e32 v78, v78, v81
	v_fmac_f32_e32 v83, 0xbf737871, v80
	v_add_f32_e32 v80, v84, v40
	v_add_f32_e32 v81, v40, v32
	v_fmac_f32_e32 v71, 0x3e9e377a, v74
	v_fmac_f32_e32 v97, 0xbf167918, v79
	;; [unrolled: 1-line block ×4, first 2 shown]
	v_add_f32_e32 v74, v80, v32
	v_fma_f32 v79, -0.5, v81, v4
	v_add_f32_e32 v80, v36, v28
	v_sub_f32_e32 v81, v37, v29
	v_fmac_f32_e32 v97, 0x3e9e377a, v78
	v_fmac_f32_e32 v83, 0x3e9e377a, v78
	v_sub_f32_e32 v78, v41, v33
	v_fma_f32 v4, -0.5, v80, v4
	v_fmamk_f32 v85, v81, 0x3f737871, v79
	v_sub_f32_e32 v80, v36, v40
	v_sub_f32_e32 v84, v28, v32
	v_fmac_f32_e32 v79, 0xbf737871, v81
	v_fmamk_f32 v87, v78, 0xbf737871, v4
	v_fmac_f32_e32 v85, 0x3f167918, v78
	v_sub_f32_e32 v86, v40, v36
	v_add_f32_e32 v80, v80, v84
	v_fmac_f32_e32 v79, 0xbf167918, v78
	v_sub_f32_e32 v88, v32, v28
	v_fmac_f32_e32 v4, 0x3f737871, v78
	v_add_f32_e32 v78, v41, v33
	v_fmac_f32_e32 v85, 0x3e9e377a, v80
	v_fmac_f32_e32 v79, 0x3e9e377a, v80
	v_add_f32_e32 v80, v37, v29
	v_add_f32_e32 v74, v74, v28
	v_fmac_f32_e32 v87, 0x3f167918, v81
	v_add_f32_e32 v84, v86, v88
	v_fmac_f32_e32 v4, 0xbf167918, v81
	v_add_f32_e32 v81, v5, v37
	v_fma_f32 v88, -0.5, v78, v5
	v_sub_f32_e32 v28, v36, v28
	v_sub_f32_e32 v32, v40, v32
	v_fma_f32 v5, -0.5, v80, v5
	v_add_f32_e32 v36, v81, v41
	v_sub_f32_e32 v78, v37, v41
	v_fmamk_f32 v40, v28, 0xbf737871, v88
	v_sub_f32_e32 v37, v41, v37
	v_fmamk_f32 v81, v32, 0x3f737871, v5
	v_sub_f32_e32 v41, v33, v29
	v_sub_f32_e32 v80, v29, v33
	v_fmac_f32_e32 v5, 0xbf737871, v32
	v_fmac_f32_e32 v4, 0x3e9e377a, v84
	;; [unrolled: 1-line block ×4, first 2 shown]
	v_add_f32_e32 v37, v37, v41
	v_add_f32_e32 v41, v78, v80
	v_fmac_f32_e32 v88, 0x3f737871, v28
	v_fmac_f32_e32 v5, 0x3f167918, v28
	v_add_f32_e32 v2, v2, v98
	v_add_f32_e32 v28, v36, v33
	v_fmac_f32_e32 v81, 0x3e9e377a, v37
	v_fmac_f32_e32 v40, 0x3e9e377a, v41
	;; [unrolled: 1-line block ×4, first 2 shown]
	v_mul_f32_e32 v36, 0x3e9e377a, v4
	v_mul_f32_e32 v37, 0xbf167918, v85
	v_fmac_f32_e32 v87, 0x3e9e377a, v84
	v_mul_f32_e32 v32, 0x3f4f1bbd, v85
	v_mul_f32_e32 v33, 0x3f737871, v81
	v_add_f32_e32 v28, v28, v29
	v_fmac_f32_e32 v88, 0x3e9e377a, v41
	v_fma_f32 v29, 0x3f737871, v5, -v36
	v_mul_f32_e32 v36, 0x3f4f1bbd, v79
	v_add_f32_e32 v84, v2, v74
	v_fmac_f32_e32 v37, 0x3f4f1bbd, v40
	v_sub_f32_e32 v90, v2, v74
	v_add_f32_e32 v2, v68, v72
	v_add_f32_e32 v67, v67, v99
	v_fmac_f32_e32 v32, 0x3f167918, v40
	v_fmac_f32_e32 v33, 0x3e9e377a, v87
	v_add_f32_e32 v80, v75, v29
	v_fma_f32 v36, 0x3f167918, v88, -v36
	v_mul_f32_e32 v41, 0xbf737871, v87
	v_mul_f32_e32 v5, 0x3e9e377a, v5
	;; [unrolled: 1-line block ×3, first 2 shown]
	v_add_f32_e32 v87, v71, v37
	v_sub_f32_e32 v96, v75, v29
	v_fma_f32 v2, -0.5, v2, v0
	v_sub_f32_e32 v29, v65, v77
	v_sub_f32_e32 v93, v71, v37
	v_add_f32_e32 v37, v64, v76
	v_add_f32_e32 v86, v70, v32
	v_add_f32_e32 v78, v3, v33
	v_add_f32_e32 v88, v66, v36
	v_fmac_f32_e32 v41, 0x3e9e377a, v81
	v_fma_f32 v4, 0xbf737871, v4, -v5
	v_fma_f32 v5, 0xbf167918, v79, -v85
	v_add_f32_e32 v85, v67, v28
	v_sub_f32_e32 v92, v70, v32
	v_sub_f32_e32 v94, v3, v33
	;; [unrolled: 1-line block ×3, first 2 shown]
	v_add_f32_e32 v3, v0, v64
	v_sub_f32_e32 v91, v67, v28
	v_fmamk_f32 v28, v29, 0x3f737871, v2
	v_sub_f32_e32 v32, v69, v73
	v_sub_f32_e32 v33, v64, v68
	;; [unrolled: 1-line block ×3, first 2 shown]
	v_fma_f32 v0, -0.5, v37, v0
	v_fmac_f32_e32 v2, 0xbf737871, v29
	v_add_f32_e32 v37, v1, v65
	v_add_f32_e32 v79, v97, v41
	;; [unrolled: 1-line block ×4, first 2 shown]
	v_sub_f32_e32 v95, v97, v41
	v_sub_f32_e32 v97, v83, v4
	v_fmac_f32_e32 v28, 0x3f167918, v32
	v_add_f32_e32 v4, v33, v36
	v_sub_f32_e32 v99, v82, v5
	v_fmamk_f32 v5, v32, 0xbf737871, v0
	v_sub_f32_e32 v33, v68, v64
	v_sub_f32_e32 v36, v72, v76
	v_fmac_f32_e32 v2, 0xbf167918, v32
	v_add_f32_e32 v40, v69, v73
	v_fmac_f32_e32 v0, 0x3f737871, v32
	v_add_f32_e32 v32, v37, v69
	;; [unrolled: 2-line block ×3, first 2 shown]
	v_fma_f32 v36, -0.5, v40, v1
	v_sub_f32_e32 v37, v64, v76
	v_fmac_f32_e32 v2, 0x3e9e377a, v4
	v_add_f32_e32 v4, v32, v73
	v_add_f32_e32 v32, v65, v77
	v_sub_f32_e32 v41, v65, v69
	v_sub_f32_e32 v64, v77, v73
	v_fmac_f32_e32 v5, 0x3f167918, v29
	v_fmac_f32_e32 v0, 0xbf167918, v29
	v_fmamk_f32 v29, v37, 0xbf737871, v36
	v_sub_f32_e32 v40, v68, v72
	v_fmac_f32_e32 v1, -0.5, v32
	v_add_f32_e32 v32, v41, v64
	v_fmac_f32_e32 v36, 0x3f737871, v37
	v_sub_f32_e32 v41, v69, v65
	v_add_f32_e32 v65, v6, v38
	v_fmac_f32_e32 v5, 0x3e9e377a, v33
	v_fmac_f32_e32 v0, 0x3e9e377a, v33
	;; [unrolled: 1-line block ×3, first 2 shown]
	v_fmamk_f32 v33, v40, 0x3f737871, v1
	v_sub_f32_e32 v64, v73, v77
	v_fmac_f32_e32 v36, 0x3f167918, v40
	v_fmac_f32_e32 v1, 0xbf737871, v40
	v_add_f32_e32 v40, v65, v42
	v_fmac_f32_e32 v29, 0x3e9e377a, v32
	v_fmac_f32_e32 v33, 0xbf167918, v37
	v_add_f32_e32 v41, v41, v64
	v_add_f32_e32 v64, v42, v34
	v_fmac_f32_e32 v36, 0x3e9e377a, v32
	v_fmac_f32_e32 v1, 0x3f167918, v37
	v_add_f32_e32 v32, v40, v34
	v_add_f32_e32 v40, v38, v30
	v_fmac_f32_e32 v33, 0x3e9e377a, v41
	v_fma_f32 v37, -0.5, v64, v6
	v_sub_f32_e32 v64, v39, v31
	v_fmac_f32_e32 v1, 0x3e9e377a, v41
	v_sub_f32_e32 v41, v43, v35
	v_fma_f32 v6, -0.5, v40, v6
	v_sub_f32_e32 v65, v38, v42
	v_fmamk_f32 v40, v64, 0x3f737871, v37
	v_sub_f32_e32 v66, v30, v34
	v_fmac_f32_e32 v37, 0xbf737871, v64
	v_fmamk_f32 v67, v41, 0xbf737871, v6
	v_fmac_f32_e32 v6, 0x3f737871, v41
	v_fmac_f32_e32 v40, 0x3f167918, v41
	v_add_f32_e32 v65, v65, v66
	v_fmac_f32_e32 v37, 0xbf167918, v41
	v_fmac_f32_e32 v67, 0x3f167918, v64
	v_add_f32_e32 v41, v43, v35
	v_fmac_f32_e32 v6, 0xbf167918, v64
	v_add_f32_e32 v64, v39, v31
	v_add_f32_e32 v3, v3, v68
	v_sub_f32_e32 v68, v42, v38
	v_sub_f32_e32 v69, v34, v30
	v_fmac_f32_e32 v40, 0x3e9e377a, v65
	v_fmac_f32_e32 v37, 0x3e9e377a, v65
	v_add_f32_e32 v65, v7, v39
	v_fma_f32 v41, -0.5, v41, v7
	v_sub_f32_e32 v34, v42, v34
	v_fmac_f32_e32 v7, -0.5, v64
	v_add_f32_e32 v32, v32, v30
	v_add_f32_e32 v66, v68, v69
	v_sub_f32_e32 v30, v38, v30
	v_add_f32_e32 v38, v65, v43
	v_sub_f32_e32 v64, v39, v43
	v_fmamk_f32 v65, v34, 0x3f737871, v7
	v_sub_f32_e32 v39, v43, v39
	v_sub_f32_e32 v43, v35, v31
	v_fmac_f32_e32 v7, 0xbf737871, v34
	v_fmac_f32_e32 v67, 0x3e9e377a, v66
	;; [unrolled: 1-line block ×3, first 2 shown]
	v_fmamk_f32 v42, v30, 0xbf737871, v41
	v_sub_f32_e32 v66, v31, v35
	v_fmac_f32_e32 v65, 0xbf167918, v30
	v_add_f32_e32 v39, v39, v43
	v_fmac_f32_e32 v41, 0x3f737871, v30
	v_fmac_f32_e32 v7, 0x3f167918, v30
	v_add_f32_e32 v43, v64, v66
	v_add_f32_e32 v30, v38, v35
	v_fmac_f32_e32 v65, 0x3e9e377a, v39
	v_fmac_f32_e32 v41, 0x3f167918, v34
	;; [unrolled: 1-line block ×3, first 2 shown]
	v_mul_f32_e32 v38, 0x3e9e377a, v6
	v_add_f32_e32 v3, v3, v72
	v_add_f32_e32 v4, v4, v77
	v_fmac_f32_e32 v42, 0xbf167918, v34
	v_mul_f32_e32 v34, 0x3f4f1bbd, v40
	v_mul_f32_e32 v35, 0x3f737871, v65
	v_add_f32_e32 v30, v30, v31
	v_fmac_f32_e32 v41, 0x3e9e377a, v43
	v_fma_f32 v31, 0x3f737871, v7, -v38
	v_mul_f32_e32 v38, 0x3f4f1bbd, v37
	v_mul_f32_e32 v39, 0xbf167918, v40
	;; [unrolled: 1-line block ×3, first 2 shown]
	v_add_f32_e32 v3, v3, v76
	v_fmac_f32_e32 v42, 0x3e9e377a, v43
	v_fmac_f32_e32 v35, 0x3e9e377a, v67
	v_fma_f32 v38, 0x3f167918, v41, -v38
	v_mul_f32_e32 v7, 0x3e9e377a, v7
	v_mul_f32_e32 v41, 0x3f4f1bbd, v41
	v_fmac_f32_e32 v40, 0x3e9e377a, v65
	v_add_f32_e32 v65, v4, v30
	v_sub_f32_e32 v75, v4, v30
	v_add_f32_e32 v4, v12, v24
	v_fmac_f32_e32 v34, 0x3f167918, v42
	v_add_f32_e32 v64, v3, v32
	v_add_f32_e32 v68, v5, v35
	v_add_f32_e32 v72, v2, v38
	v_fma_f32 v6, 0xbf737871, v6, -v7
	v_fma_f32 v7, 0xbf167918, v37, -v41
	v_add_f32_e32 v37, v16, v20
	v_sub_f32_e32 v74, v3, v32
	v_sub_f32_e32 v104, v5, v35
	;; [unrolled: 1-line block ×6, first 2 shown]
	v_fma_f32 v30, -0.5, v4, v8
	v_add_f32_e32 v66, v28, v34
	v_add_f32_e32 v70, v0, v31
	v_fmac_f32_e32 v39, 0x3f4f1bbd, v42
	v_add_f32_e32 v71, v1, v6
	v_sub_f32_e32 v102, v28, v34
	v_sub_f32_e32 v106, v0, v31
	v_fma_f32 v28, -0.5, v37, v8
	v_sub_f32_e32 v0, v13, v25
	v_sub_f32_e32 v107, v1, v6
	v_add_f32_e32 v1, v3, v5
	v_add_f32_e32 v3, v17, v21
	v_fmamk_f32 v31, v2, 0xbf737871, v30
	v_fmac_f32_e32 v30, 0x3f737871, v2
	v_add_f32_e32 v67, v29, v39
	v_sub_f32_e32 v103, v29, v39
	v_fmamk_f32 v29, v0, 0x3f737871, v28
	v_fmac_f32_e32 v28, 0xbf737871, v0
	v_fma_f32 v32, -0.5, v3, v9
	v_fmac_f32_e32 v31, 0x3f167918, v0
	v_sub_f32_e32 v3, v16, v12
	v_sub_f32_e32 v4, v20, v24
	v_fmac_f32_e32 v30, 0xbf167918, v0
	v_add_f32_e32 v0, v13, v25
	v_fmac_f32_e32 v29, 0x3f167918, v2
	v_fmac_f32_e32 v28, 0xbf167918, v2
	v_sub_f32_e32 v2, v16, v20
	v_sub_f32_e32 v5, v13, v17
	;; [unrolled: 1-line block ×3, first 2 shown]
	v_add_f32_e32 v3, v3, v4
	v_fma_f32 v34, -0.5, v0, v9
	v_fmac_f32_e32 v29, 0x3e9e377a, v1
	v_fmac_f32_e32 v28, 0x3e9e377a, v1
	v_sub_f32_e32 v1, v12, v24
	v_add_f32_e32 v4, v5, v6
	v_fmac_f32_e32 v31, 0x3e9e377a, v3
	v_fmac_f32_e32 v30, 0x3e9e377a, v3
	v_fmamk_f32 v35, v2, 0x3f737871, v34
	v_sub_f32_e32 v3, v17, v13
	v_sub_f32_e32 v5, v21, v25
	v_fmac_f32_e32 v34, 0xbf737871, v2
	v_add_f32_e32 v69, v33, v40
	v_add_f32_e32 v73, v36, v7
	v_sub_f32_e32 v105, v33, v40
	v_sub_f32_e32 v109, v36, v7
	v_fmamk_f32 v33, v1, 0xbf737871, v32
	v_fmac_f32_e32 v32, 0x3f737871, v1
	v_fmac_f32_e32 v35, 0xbf167918, v1
	v_add_f32_e32 v3, v3, v5
	v_fmac_f32_e32 v34, 0x3f167918, v1
	v_sub_f32_e32 v6, v14, v18
	v_sub_f32_e32 v7, v26, v22
	v_fmac_f32_e32 v33, 0xbf167918, v2
	v_fmac_f32_e32 v32, 0x3f167918, v2
	v_add_f32_e32 v0, v18, v22
	v_fmac_f32_e32 v35, 0x3e9e377a, v3
	v_fmac_f32_e32 v34, 0x3e9e377a, v3
	v_add_f32_e32 v3, v6, v7
	v_sub_f32_e32 v7, v18, v14
	v_sub_f32_e32 v36, v22, v26
	v_fmac_f32_e32 v33, 0x3e9e377a, v4
	v_fma_f32 v0, -0.5, v0, v10
	v_sub_f32_e32 v2, v15, v27
	v_fmac_f32_e32 v32, 0x3e9e377a, v4
	v_add_f32_e32 v4, v14, v26
	v_add_f32_e32 v7, v7, v36
	;; [unrolled: 1-line block ×3, first 2 shown]
	v_fmamk_f32 v1, v2, 0x3f737871, v0
	v_sub_f32_e32 v5, v19, v23
	v_fma_f32 v4, -0.5, v4, v10
	v_fmac_f32_e32 v0, 0xbf737871, v2
	v_add_f32_e32 v37, v19, v23
	v_sub_f32_e32 v38, v18, v22
	v_fma_f32 v39, -0.5, v36, v11
	v_fmac_f32_e32 v1, 0x3f167918, v5
	v_fmamk_f32 v6, v5, 0xbf737871, v4
	v_fmac_f32_e32 v0, 0xbf167918, v5
	v_fmac_f32_e32 v4, 0x3f737871, v5
	v_fma_f32 v5, -0.5, v37, v11
	v_sub_f32_e32 v37, v14, v26
	v_fmamk_f32 v42, v38, 0x3f737871, v39
	v_sub_f32_e32 v40, v19, v15
	v_sub_f32_e32 v41, v23, v27
	v_fmac_f32_e32 v6, 0x3f167918, v2
	v_fmac_f32_e32 v4, 0xbf167918, v2
	v_fmamk_f32 v2, v37, 0xbf737871, v5
	v_sub_f32_e32 v36, v15, v19
	v_sub_f32_e32 v43, v27, v23
	v_fmac_f32_e32 v39, 0xbf737871, v38
	v_fmac_f32_e32 v42, 0xbf167918, v37
	v_add_f32_e32 v40, v40, v41
	v_fmac_f32_e32 v5, 0x3f737871, v37
	v_add_f32_e32 v41, v36, v43
	v_fmac_f32_e32 v39, 0x3f167918, v37
	v_fmac_f32_e32 v1, 0x3e9e377a, v3
	;; [unrolled: 1-line block ×8, first 2 shown]
	v_mul_f32_e32 v37, 0x3f737871, v42
	v_fmac_f32_e32 v0, 0x3e9e377a, v3
	v_fmac_f32_e32 v5, 0x3e9e377a, v41
	v_mul_lo_u16 v76, v225, 10
	v_mov_b32_e32 v149, 3
	v_add_co_u32 v101, null, 0x78, v225
	v_fmac_f32_e32 v2, 0x3e9e377a, v41
	v_mul_f32_e32 v36, 0x3f4f1bbd, v1
	v_mul_f32_e32 v7, 0x3e9e377a, v4
	v_fmac_f32_e32 v37, 0x3e9e377a, v6
	v_mul_f32_e32 v3, 0x3f4f1bbd, v0
	v_mul_f32_e32 v40, 0xbf167918, v1
	;; [unrolled: 1-line block ×5, first 2 shown]
	v_lshlrev_b32_sdwa v77, v149, v76 dst_sel:DWORD dst_unused:UNUSED_PAD src0_sel:DWORD src1_sel:WORD_0
	v_add_co_u32 v100, null, 0xb4, v225
	v_fmac_f32_e32 v36, 0x3f167918, v2
	v_fma_f32 v38, 0x3f737871, v39, -v7
	v_fma_f32 v39, 0x3f167918, v5, -v3
	v_fmac_f32_e32 v40, 0x3f4f1bbd, v2
	v_fmac_f32_e32 v41, 0x3e9e377a, v42
	v_fma_f32 v42, 0xbf737871, v4, -v1
	v_fma_f32 v43, 0xbf167918, v0, -v6
	v_mul_u32_u24_e32 v76, 10, v148
	s_barrier
	buffer_gl0_inv
	ds_write_b128 v77, v[52:55]
	ds_write_b128 v77, v[56:59] offset:16
	v_mul_u32_u24_e32 v52, 10, v101
	v_sub_f32_e32 v4, v29, v36
	v_sub_f32_e32 v6, v31, v37
	;; [unrolled: 1-line block ×8, first 2 shown]
	v_lshlrev_b32_e32 v53, 3, v76
	ds_write_b128 v77, v[44:47] offset:32
	ds_write_b128 v77, v[48:51] offset:48
	v_lshlrev_b32_e32 v45, 3, v52
	v_mul_u32_u24_e32 v44, 10, v100
	buffer_store_dword v77, off, s[20:23], 0 offset:332 ; 4-byte Folded Spill
	ds_write_b128 v77, v[60:63] offset:64
	ds_write_b128 v53, v[84:87]
	ds_write_b128 v53, v[78:81] offset:16
	ds_write_b128 v53, v[88:91] offset:32
	ds_write_b128 v53, v[92:95] offset:48
	buffer_store_dword v53, off, s[20:23], 0 offset:336 ; 4-byte Folded Spill
	ds_write_b128 v53, v[96:99] offset:64
	ds_write_b128 v45, v[64:67]
	buffer_store_dword v44, off, s[20:23], 0 offset:512 ; 4-byte Folded Spill
	ds_write_b128 v45, v[68:71] offset:16
	ds_write_b128 v45, v[72:75] offset:32
	;; [unrolled: 1-line block ×3, first 2 shown]
	buffer_store_dword v45, off, s[20:23], 0 offset:340 ; 4-byte Folded Spill
	ds_write_b128 v45, v[106:109] offset:64
	s_and_saveexec_b32 s0, vcc_lo
	s_cbranch_execz .LBB0_7
; %bb.6:
	v_add_f32_e32 v8, v8, v12
	v_add_f32_e32 v10, v10, v14
	;; [unrolled: 1-line block ×21, first 2 shown]
	v_sub_f32_e32 v10, v8, v16
	v_add_f32_e32 v16, v8, v16
	v_mul_u32_u24_e32 v8, 10, v100
	v_add_f32_e32 v17, v12, v14
	v_sub_f32_e32 v11, v12, v14
	v_add_f32_e32 v14, v30, v38
	v_add_f32_e32 v12, v31, v37
	v_lshlrev_b32_e32 v20, 3, v8
	v_add_f32_e32 v8, v28, v39
	ds_write_b128 v20, v[16:19]
	ds_write_b128 v20, v[12:15] offset:16
	ds_write_b128 v20, v[8:11] offset:32
	;; [unrolled: 1-line block ×4, first 2 shown]
.LBB0_7:
	s_or_b32 exec_lo, exec_lo, s0
	v_and_b32_e32 v8, 0xff, v225
	v_and_b32_e32 v9, 0xff, v148
	;; [unrolled: 1-line block ×4, first 2 shown]
	s_waitcnt lgkmcnt(0)
	s_waitcnt_vscnt null, 0x0
	v_mul_lo_u16 v8, 0xcd, v8
	v_mul_lo_u16 v9, 0xcd, v9
	;; [unrolled: 1-line block ×4, first 2 shown]
	s_barrier
	v_lshrrev_b16 v56, 11, v8
	v_lshrrev_b16 v62, 11, v9
	;; [unrolled: 1-line block ×4, first 2 shown]
	buffer_gl0_inv
	v_mul_lo_u16 v8, v56, 10
	v_mul_lo_u16 v9, v62, 10
	v_mul_lo_u16 v12, v82, 10
	v_mul_lo_u16 v13, v74, 10
	v_add_nc_u32_e32 v66, 0xf0, v225
	v_sub_nc_u16 v8, v225, v8
	v_sub_nc_u16 v9, v148, v9
	;; [unrolled: 1-line block ×4, first 2 shown]
	v_mov_b32_e32 v52, 0xcccd
	v_and_b32_e32 v57, 0xff, v8
	v_and_b32_e32 v69, 0xff, v9
	;; [unrolled: 1-line block ×4, first 2 shown]
	v_mul_u32_u24_sdwa v44, v66, v52 dst_sel:DWORD dst_unused:UNUSED_PAD src0_sel:WORD_0 src1_sel:DWORD
	v_mad_u64_u32 v[8:9], null, v57, 40, s[2:3]
	v_mad_u64_u32 v[10:11], null, v69, 40, s[2:3]
	;; [unrolled: 1-line block ×4, first 2 shown]
	s_clause 0x9
	global_load_dwordx4 v[40:43], v[8:9], off
	global_load_dwordx4 v[28:31], v[8:9], off offset:16
	global_load_dwordx4 v[36:39], v[10:11], off
	global_load_dwordx2 v[80:81], v[8:9], off offset:32
	global_load_dwordx4 v[24:27], v[10:11], off offset:16
	global_load_dwordx2 v[102:103], v[10:11], off offset:32
	global_load_dwordx4 v[20:23], v[32:33], off
	global_load_dwordx4 v[8:11], v[34:35], off
	global_load_dwordx4 v[16:19], v[32:33], off offset:16
	global_load_dwordx4 v[12:15], v[34:35], off offset:16
	v_lshrrev_b32_e32 v72, 19, v44
	s_clause 0x1
	global_load_dwordx2 v[142:143], v[32:33], off offset:32
	global_load_dwordx2 v[105:106], v[34:35], off offset:32
	v_add_nc_u32_e32 v240, 0x800, v242
	v_add_nc_u32_e32 v67, 0x12c, v225
	;; [unrolled: 1-line block ×3, first 2 shown]
	v_mul_lo_u16 v32, v72, 10
	v_add_nc_u32_e32 v230, 0x2000, v242
	ds_read2_b64 v[44:47], v240 offset0:104 offset1:164
	v_mul_u32_u24_sdwa v52, v67, v52 dst_sel:DWORD dst_unused:UNUSED_PAD src0_sel:WORD_0 src1_sel:DWORD
	v_add_nc_u32_e32 v234, 0x2800, v242
	v_sub_nc_u16 v73, v66, v32
	v_add_nc_u32_e32 v241, 0x3800, v242
	ds_read2_b64 v[48:51], v232 offset0:80 offset1:140
	v_add_nc_u32_e32 v58, 0xc00, v242
	v_lshrrev_b32_e32 v60, 19, v52
	v_mul_lo_u16 v32, v73, 40
	v_add_nc_u32_e32 v231, 0x1800, v242
	v_add_nc_u32_e32 v182, 0x3000, v242
	v_mov_b32_e32 v179, v58
	v_add_nc_u32_e32 v180, 0x1000, v242
	v_and_b32_e32 v32, 0xffff, v32
	v_add_nc_u32_e32 v181, 0x400, v242
	v_mul_lo_u16 v65, 0x89, v65
	v_mul_lo_u16 v64, 0x89, v64
	v_mov_b32_e32 v201, v232
	v_add_co_u32 v70, s0, s2, v32
	v_add_co_ci_u32_e64 v71, null, s3, 0, s0
	v_lshrrev_b16 v65, 13, v65
	v_lshrrev_b16 v64, 13, v64
	global_load_dwordx4 v[32:35], v[70:71], off
	ds_read2_b64 v[52:55], v230 offset0:56 offset1:116
	ds_read2_b64 v[76:79], v234 offset0:160 offset1:220
	;; [unrolled: 1-line block ×4, first 2 shown]
	v_mul_lo_u16 v58, v60, 10
	ds_read2_b64 v[92:95], v231 offset0:72 offset1:132
	ds_read2_b64 v[96:99], v230 offset0:176 offset1:236
	;; [unrolled: 1-line block ×4, first 2 shown]
	v_mul_lo_u16 v65, v65, 60
	v_mul_lo_u16 v64, v64, 60
	v_sub_nc_u16 v61, v67, v58
	v_sub_nc_u16 v65, v101, v65
	;; [unrolled: 1-line block ×3, first 2 shown]
	v_and_b32_e32 v163, 0xff, v65
	v_and_b32_e32 v162, 0xff, v64
	s_waitcnt vmcnt(12) lgkmcnt(9)
	v_mul_f32_e32 v58, v45, v41
	v_mul_f32_e32 v122, v44, v41
	s_waitcnt vmcnt(7) lgkmcnt(5)
	v_mul_f32_e32 v124, v86, v103
	v_mul_f32_e32 v130, v84, v81
	;; [unrolled: 1-line block ×3, first 2 shown]
	v_fma_f32 v123, v44, v40, -v58
	v_fmac_f32_e32 v122, v45, v40
	v_mul_f32_e32 v44, v51, v39
	v_mul_f32_e32 v45, v53, v29
	;; [unrolled: 1-line block ×3, first 2 shown]
	v_fma_f32 v109, v46, v36, -v59
	v_mul_f32_e32 v46, v77, v31
	v_fma_f32 v121, v50, v38, -v44
	v_mul_f32_e32 v44, v55, v25
	;; [unrolled: 2-line block ×3, first 2 shown]
	v_fma_f32 v133, v76, v30, -v46
	s_waitcnt vmcnt(6) lgkmcnt(4)
	v_mul_f32_e32 v46, v89, v21
	v_fma_f32 v120, v54, v24, -v44
	v_mul_f32_e32 v44, v79, v27
	v_fma_f32 v132, v84, v80, -v45
	buffer_store_dword v80, off, s[20:23], 0 offset:344 ; 4-byte Folded Spill
	buffer_store_dword v81, off, s[20:23], 0 offset:348 ; 4-byte Folded Spill
	s_waitcnt lgkmcnt(3)
	v_mul_f32_e32 v45, v93, v23
	v_mul_f32_e32 v111, v92, v23
	v_fma_f32 v127, v78, v26, -v44
	v_mul_f32_e32 v44, v87, v103
	s_waitcnt vmcnt(5)
	v_mul_f32_e32 v84, v90, v9
	v_fma_f32 v113, v92, v22, -v45
	v_fma_f32 v104, v88, v20, -v46
	s_waitcnt vmcnt(4) lgkmcnt(1)
	v_mul_f32_e32 v45, v135, v19
	v_fma_f32 v126, v86, v102, -v44
	buffer_store_dword v102, off, s[20:23], 0 offset:352 ; 4-byte Folded Spill
	buffer_store_dword v103, off, s[20:23], 0 offset:356 ; 4-byte Folded Spill
	v_mul_f32_e32 v44, v91, v9
	v_mul_f32_e32 v110, v96, v17
	v_fma_f32 v117, v134, v18, -v45
	s_waitcnt vmcnt(1) lgkmcnt(0)
	v_mul_f32_e32 v45, v141, v106
	v_mul_f32_e32 v46, v97, v17
	v_mul_f32_e32 v114, v138, v143
	v_fmac_f32_e32 v110, v97, v16
	v_mul_f32_e32 v63, v49, v43
	v_fma_f32 v97, v140, v105, -v45
	v_fma_f32 v112, v96, v16, -v46
	v_mul_lo_u16 v46, v61, 40
	v_mul_f32_e32 v59, v48, v43
	v_mul_f32_e32 v119, v50, v39
	v_fmac_f32_e32 v108, v47, v36
	v_fma_f32 v129, v48, v42, -v63
	v_and_b32_e32 v46, 0xffff, v46
	v_fmac_f32_e32 v59, v49, v42
	v_fmac_f32_e32 v119, v51, v38
	v_mul_f32_e32 v58, v52, v29
	v_mul_f32_e32 v118, v54, v25
	;; [unrolled: 1-line block ×4, first 2 shown]
	v_fmac_f32_e32 v84, v91, v8
	v_fmac_f32_e32 v58, v53, v28
	;; [unrolled: 1-line block ×5, first 2 shown]
	v_mul_f32_e32 v115, v134, v19
	v_fmac_f32_e32 v111, v93, v22
	v_fmac_f32_e32 v115, v135, v18
	;; [unrolled: 1-line block ×3, first 2 shown]
	v_fma_f32 v85, v90, v8, -v44
	v_mul_f32_e32 v44, v95, v11
	v_sub_f32_e32 v145, v58, v130
	v_fma_f32 v92, v94, v10, -v44
	v_mul_f32_e32 v44, v99, v13
	v_fmac_f32_e32 v124, v87, v102
	v_mul_f32_e32 v102, v88, v21
	v_mul_f32_e32 v88, v98, v13
	v_fma_f32 v90, v98, v12, -v44
	v_mul_f32_e32 v44, v137, v15
	v_fmac_f32_e32 v102, v89, v20
	v_fmac_f32_e32 v88, v99, v12
	v_mul_f32_e32 v89, v94, v11
	v_fma_f32 v99, v136, v14, -v44
	v_mul_f32_e32 v44, v139, v143
	v_mul_f32_e32 v94, v140, v106
	v_fmac_f32_e32 v89, v95, v10
	v_mul_f32_e32 v95, v136, v15
	v_fma_f32 v116, v138, v142, -v44
	buffer_store_dword v142, off, s[20:23], 0 offset:368 ; 4-byte Folded Spill
	buffer_store_dword v143, off, s[20:23], 0 offset:372 ; 4-byte Folded Spill
	;; [unrolled: 1-line block ×4, first 2 shown]
	v_sub_f32_e32 v143, v128, v132
	v_fmac_f32_e32 v95, v137, v14
	v_fmac_f32_e32 v114, v139, v142
	v_fmac_f32_e32 v94, v141, v105
	v_add_co_u32 v105, s0, s2, v46
	s_clause 0x1
	global_load_dwordx2 v[138:139], v[70:71], off offset:32
	global_load_dwordx4 v[44:47], v[70:71], off offset:16
	ds_read2_b64 v[48:51], v180 offset0:88 offset1:148
	v_add_co_ci_u32_e64 v106, null, s3, 0, s0
	ds_read2_b64 v[77:80], v234 offset0:40 offset1:100
	s_waitcnt vmcnt(2) lgkmcnt(1)
	v_mul_f32_e32 v52, v49, v33
	v_mul_f32_e32 v87, v48, v33
	v_fma_f32 v86, v48, v32, -v52
	global_load_dwordx4 v[52:55], v[105:106], off
	v_fmac_f32_e32 v87, v49, v32
	s_waitcnt vmcnt(1) lgkmcnt(0)
	v_mul_f32_e32 v93, v77, v45
	v_fmac_f32_e32 v93, v78, v44
	s_waitcnt vmcnt(0)
	v_mul_f32_e32 v48, v51, v53
	v_mul_f32_e32 v68, v50, v53
	v_fma_f32 v63, v50, v52, -v48
	v_fmac_f32_e32 v68, v51, v52
	ds_read2_b64 v[48:51], v231 offset0:192 offset1:252
	s_waitcnt lgkmcnt(0)
	v_mul_f32_e32 v70, v49, v35
	v_mul_f32_e32 v91, v48, v35
	;; [unrolled: 1-line block ×3, first 2 shown]
	v_fma_f32 v98, v48, v34, -v70
	v_mul_f32_e32 v48, v51, v55
	v_fmac_f32_e32 v91, v49, v34
	v_fmac_f32_e32 v71, v51, v54
	v_fma_f32 v70, v50, v54, -v48
	v_mul_f32_e32 v48, v78, v45
	v_fma_f32 v96, v77, v44, -v48
	s_clause 0x1
	global_load_dwordx2 v[140:141], v[105:106], off offset:32
	global_load_dwordx4 v[48:51], v[105:106], off offset:16
	ds_read2_b64 v[134:137], v182 offset0:144 offset1:204
	s_waitcnt lgkmcnt(0)
	v_mul_f32_e32 v77, v135, v47
	v_mul_f32_e32 v103, v134, v47
	v_fma_f32 v107, v134, v46, -v77
	v_fmac_f32_e32 v103, v135, v46
	s_waitcnt vmcnt(0)
	v_mul_f32_e32 v76, v80, v49
	v_mul_f32_e32 v77, v137, v51
	v_fma_f32 v78, v79, v48, -v76
	v_mul_f32_e32 v76, v79, v49
	v_fma_f32 v79, v136, v50, -v77
	v_mul_f32_e32 v77, v136, v51
	v_fmac_f32_e32 v76, v80, v48
	v_add_nc_u32_e32 v80, 0x3c00, v242
	v_fmac_f32_e32 v77, v137, v50
	ds_read2_b64 v[134:137], v80 offset0:120 offset1:180
	v_mov_b32_e32 v245, v80
	s_waitcnt lgkmcnt(0)
	v_mul_f32_e32 v80, v135, v139
	v_mul_f32_e32 v106, v134, v139
	;; [unrolled: 1-line block ×3, first 2 shown]
	v_fma_f32 v105, v134, v138, -v80
	v_mul_f32_e32 v80, v137, v141
	buffer_store_dword v138, off, s[20:23], 0 offset:376 ; 4-byte Folded Spill
	buffer_store_dword v139, off, s[20:23], 0 offset:380 ; 4-byte Folded Spill
	v_sub_f32_e32 v139, v129, v133
	v_fma_f32 v80, v136, v140, -v80
	buffer_store_dword v140, off, s[20:23], 0 offset:388 ; 4-byte Folded Spill
	buffer_store_dword v141, off, s[20:23], 0 offset:392 ; 4-byte Folded Spill
	v_sub_f32_e32 v141, v59, v131
	v_fmac_f32_e32 v106, v135, v138
	v_mov_b32_e32 v138, 60
	v_fmac_f32_e32 v81, v137, v140
	ds_read2_b64 v[134:137], v242 offset1:60
	v_mul_u32_u24_sdwa v56, v56, v138 dst_sel:DWORD dst_unused:UNUSED_PAD src0_sel:WORD_0 src1_sel:DWORD
	v_mul_u32_u24_sdwa v62, v62, v138 dst_sel:DWORD dst_unused:UNUSED_PAD src0_sel:WORD_0 src1_sel:DWORD
	;; [unrolled: 1-line block ×3, first 2 shown]
	v_add_lshl_u32 v155, v56, v57, 3
	v_add_f32_e32 v57, v129, v133
	s_waitcnt lgkmcnt(0)
	v_add_f32_e32 v56, v134, v129
	v_add_f32_e32 v129, v122, v58
	v_fma_f32 v151, -0.5, v57, v134
	v_add_f32_e32 v140, v56, v133
	v_add_f32_e32 v56, v135, v59
	;; [unrolled: 1-line block ×4, first 2 shown]
	v_fmamk_f32 v153, v141, 0x3f5db3d7, v151
	v_fmac_f32_e32 v151, 0xbf5db3d7, v141
	v_add_f32_e32 v142, v56, v131
	v_add_f32_e32 v56, v58, v130
	;; [unrolled: 1-line block ×3, first 2 shown]
	v_fma_f32 v152, -0.5, v59, v135
	v_add_f32_e32 v133, v142, v146
	v_fmac_f32_e32 v122, -0.5, v56
	v_add_f32_e32 v56, v123, v128
	v_fmac_f32_e32 v123, -0.5, v131
	v_fmamk_f32 v154, v139, 0xbf5db3d7, v152
	v_fmac_f32_e32 v152, 0x3f5db3d7, v139
	v_add_lshl_u32 v139, v62, v69, 3
	v_add_f32_e32 v144, v56, v132
	v_fmamk_f32 v56, v143, 0xbf5db3d7, v122
	v_fmamk_f32 v58, v145, 0x3f5db3d7, v123
	v_fmac_f32_e32 v123, 0xbf5db3d7, v145
	v_fmac_f32_e32 v122, 0x3f5db3d7, v143
	v_add_f32_e32 v132, v140, v144
	v_mul_f32_e32 v147, 0x3f5db3d7, v56
	v_mul_f32_e32 v150, 0xbf5db3d7, v58
	v_add_f32_e32 v62, v136, v121
	v_add_f32_e32 v69, v121, v127
	v_fmac_f32_e32 v147, 0.5, v58
	v_fmac_f32_e32 v150, 0.5, v56
	ds_read2_b64 v[128:131], v242 offset0:120 offset1:180
	ds_read2_b64 v[56:59], v181 offset0:112 offset1:172
	s_waitcnt lgkmcnt(0)
	s_waitcnt_vscnt null, 0x0
	s_barrier
	v_add_f32_e32 v134, v153, v147
	v_add_f32_e32 v135, v154, v150
	buffer_gl0_inv
	v_add_f32_e32 v62, v62, v127
	v_fma_f32 v69, -0.5, v69, v136
	buffer_store_dword v155, off, s[20:23], 0 offset:408 ; 4-byte Folded Spill
	ds_write2_b64 v155, v[132:133], v[134:135] offset1:10
	v_mul_f32_e32 v134, -0.5, v123
	v_mul_f32_e32 v135, -0.5, v122
	v_sub_f32_e32 v132, v140, v144
	v_sub_f32_e32 v133, v142, v146
	buffer_store_dword v139, off, s[20:23], 0 offset:384 ; 4-byte Folded Spill
	v_fmac_f32_e32 v134, 0x3f5db3d7, v122
	v_fmac_f32_e32 v135, 0xbf5db3d7, v123
	v_add_f32_e32 v122, v151, v134
	v_add_f32_e32 v123, v152, v135
	ds_write2_b64 v155, v[122:123], v[132:133] offset0:20 offset1:30
	v_sub_f32_e32 v122, v153, v147
	v_sub_f32_e32 v123, v154, v150
	;; [unrolled: 1-line block ×4, first 2 shown]
	v_mad_u64_u32 v[146:147], null, v225, 40, s[2:3]
	ds_write2_b64 v155, v[122:123], v[132:133] offset0:40 offset1:50
	v_add_f32_e32 v123, v119, v125
	v_sub_f32_e32 v122, v121, v127
	v_add_f32_e32 v121, v137, v119
	v_sub_f32_e32 v127, v119, v125
	v_add_f32_e32 v119, v118, v124
	v_fmac_f32_e32 v137, -0.5, v123
	v_add_f32_e32 v123, v120, v126
	v_add_f32_e32 v125, v121, v125
	;; [unrolled: 1-line block ×3, first 2 shown]
	v_fmac_f32_e32 v108, -0.5, v119
	v_add_f32_e32 v119, v109, v120
	v_sub_f32_e32 v132, v120, v126
	v_fmac_f32_e32 v109, -0.5, v123
	v_sub_f32_e32 v123, v118, v124
	v_add_f32_e32 v124, v121, v124
	v_add_f32_e32 v126, v119, v126
	v_fmamk_f32 v118, v132, 0xbf5db3d7, v108
	v_fmamk_f32 v135, v127, 0x3f5db3d7, v69
	;; [unrolled: 1-line block ×4, first 2 shown]
	v_fmac_f32_e32 v109, 0xbf5db3d7, v123
	v_mul_f32_e32 v133, 0x3f5db3d7, v118
	v_fmac_f32_e32 v108, 0x3f5db3d7, v132
	v_mul_f32_e32 v134, 0xbf5db3d7, v119
	v_fmac_f32_e32 v69, 0xbf5db3d7, v127
	v_fmac_f32_e32 v137, 0x3f5db3d7, v122
	v_fmac_f32_e32 v133, 0.5, v119
	v_add_f32_e32 v119, v125, v124
	v_fmac_f32_e32 v134, 0.5, v118
	v_add_f32_e32 v118, v62, v126
	v_add_f32_e32 v120, v135, v133
	;; [unrolled: 1-line block ×3, first 2 shown]
	ds_write2_b64 v139, v[118:119], v[120:121] offset1:10
	v_sub_f32_e32 v118, v62, v126
	v_mul_f32_e32 v62, -0.5, v109
	v_mul_f32_e32 v120, -0.5, v108
	v_sub_f32_e32 v119, v125, v124
	v_fmac_f32_e32 v62, 0x3f5db3d7, v108
	v_fmac_f32_e32 v120, 0xbf5db3d7, v109
	v_add_f32_e32 v108, v69, v62
	v_add_f32_e32 v109, v137, v120
	ds_write2_b64 v139, v[108:109], v[118:119] offset0:20 offset1:30
	v_sub_f32_e32 v108, v69, v62
	v_mul_u32_u24_sdwa v62, v82, v138 dst_sel:DWORD dst_unused:UNUSED_PAD src0_sel:WORD_0 src1_sel:DWORD
	v_sub_f32_e32 v109, v137, v120
	v_sub_f32_e32 v118, v135, v133
	;; [unrolled: 1-line block ×3, first 2 shown]
	v_add_f32_e32 v82, v129, v111
	v_add_lshl_u32 v122, v62, v83, 3
	v_add_f32_e32 v62, v128, v113
	v_add_f32_e32 v69, v113, v117
	ds_write2_b64 v139, v[118:119], v[108:109] offset0:40 offset1:50
	v_sub_f32_e32 v113, v113, v117
	v_add_f32_e32 v83, v111, v115
	v_add_f32_e32 v62, v62, v117
	v_sub_f32_e32 v117, v111, v115
	v_add_f32_e32 v111, v82, v115
	v_add_f32_e32 v82, v110, v114
	;; [unrolled: 1-line block ×4, first 2 shown]
	v_sub_f32_e32 v110, v110, v114
	v_fma_f32 v69, -0.5, v69, v128
	v_fmac_f32_e32 v102, -0.5, v82
	v_add_f32_e32 v82, v104, v112
	v_sub_f32_e32 v112, v112, v116
	v_fmac_f32_e32 v104, -0.5, v109
	v_add_f32_e32 v114, v108, v114
	v_fma_f32 v119, -0.5, v83, v129
	v_add_f32_e32 v115, v82, v116
	v_fmamk_f32 v82, v112, 0xbf5db3d7, v102
	v_fmamk_f32 v108, v110, 0x3f5db3d7, v104
	;; [unrolled: 1-line block ×4, first 2 shown]
	v_add_f32_e32 v83, v111, v114
	v_mul_f32_e32 v116, 0x3f5db3d7, v82
	v_mul_f32_e32 v118, 0xbf5db3d7, v108
	v_fmac_f32_e32 v104, 0xbf5db3d7, v110
	v_fmac_f32_e32 v102, 0x3f5db3d7, v112
	;; [unrolled: 1-line block ×3, first 2 shown]
	v_fmac_f32_e32 v116, 0.5, v108
	v_fmac_f32_e32 v118, 0.5, v82
	v_add_f32_e32 v82, v62, v115
	v_fmac_f32_e32 v119, 0x3f5db3d7, v113
	buffer_store_dword v122, off, s[20:23], 0 offset:396 ; 4-byte Folded Spill
	v_add_f32_e32 v108, v120, v116
	v_add_f32_e32 v109, v121, v118
	ds_write2_b64 v122, v[82:83], v[108:109] offset1:10
	v_sub_f32_e32 v82, v62, v115
	v_mul_f32_e32 v62, -0.5, v104
	v_sub_f32_e32 v83, v111, v114
	v_fmac_f32_e32 v62, 0x3f5db3d7, v102
	v_mul_f32_e32 v102, -0.5, v102
	v_add_f32_e32 v108, v69, v62
	v_fmac_f32_e32 v102, 0xbf5db3d7, v104
	v_add_f32_e32 v109, v119, v102
	ds_write2_b64 v122, v[108:109], v[82:83] offset0:20 offset1:30
	v_sub_f32_e32 v82, v120, v116
	v_sub_f32_e32 v83, v121, v118
	;; [unrolled: 1-line block ×4, first 2 shown]
	v_add_f32_e32 v62, v130, v92
	v_add_f32_e32 v69, v92, v99
	v_sub_f32_e32 v92, v92, v99
	ds_write2_b64 v122, v[82:83], v[108:109] offset0:40 offset1:50
	v_add_f32_e32 v82, v131, v89
	v_add_f32_e32 v83, v89, v95
	v_sub_f32_e32 v89, v89, v95
	v_add_f32_e32 v62, v62, v99
	v_add_f32_e32 v99, v84, v88
	v_add_f32_e32 v95, v82, v95
	v_add_f32_e32 v82, v90, v97
	v_fmac_f32_e32 v131, -0.5, v83
	v_add_f32_e32 v83, v85, v90
	v_sub_f32_e32 v90, v90, v97
	v_fma_f32 v69, -0.5, v69, v130
	v_fmac_f32_e32 v85, -0.5, v82
	v_add_f32_e32 v82, v88, v94
	v_sub_f32_e32 v88, v88, v94
	v_add_f32_e32 v97, v83, v97
	v_add_f32_e32 v94, v99, v94
	v_fmamk_f32 v104, v89, 0x3f5db3d7, v69
	v_fmac_f32_e32 v84, -0.5, v82
	v_fmamk_f32 v83, v88, 0x3f5db3d7, v85
	v_fmamk_f32 v108, v92, 0xbf5db3d7, v131
	v_add_lshl_u32 v109, v74, v75, 3
	v_add_f32_e32 v74, v62, v97
	v_fmamk_f32 v82, v90, 0xbf5db3d7, v84
	v_mul_f32_e32 v102, 0xbf5db3d7, v83
	v_add_f32_e32 v75, v95, v94
	v_fmac_f32_e32 v85, 0xbf5db3d7, v88
	v_fmac_f32_e32 v84, 0x3f5db3d7, v90
	v_mul_f32_e32 v99, 0x3f5db3d7, v82
	v_fmac_f32_e32 v102, 0.5, v82
	v_fmac_f32_e32 v69, 0xbf5db3d7, v89
	v_fmac_f32_e32 v131, 0x3f5db3d7, v92
	v_add_f32_e32 v88, v93, v106
	v_fmac_f32_e32 v99, 0.5, v83
	v_add_f32_e32 v83, v108, v102
	v_add_f32_e32 v89, v86, v96
	v_add_f32_e32 v90, v57, v91
	v_sub_f32_e32 v92, v91, v103
	v_add_f32_e32 v82, v104, v99
	v_add_f32_e32 v91, v91, v103
	;; [unrolled: 1-line block ×4, first 2 shown]
	buffer_store_dword v109, off, s[20:23], 0 offset:400 ; 4-byte Folded Spill
	ds_write2_b64 v109, v[74:75], v[82:83] offset1:10
	v_sub_f32_e32 v74, v62, v97
	v_mul_f32_e32 v62, -0.5, v85
	v_sub_f32_e32 v75, v95, v94
	v_fma_f32 v91, -0.5, v91, v57
	v_fmac_f32_e32 v62, 0x3f5db3d7, v84
	v_mul_f32_e32 v84, -0.5, v84
	v_add_f32_e32 v82, v69, v62
	v_fmac_f32_e32 v84, 0xbf5db3d7, v85
	v_sub_f32_e32 v85, v98, v107
	v_add_f32_e32 v83, v131, v84
	ds_write2_b64 v109, v[82:83], v[74:75] offset0:20 offset1:30
	v_sub_f32_e32 v74, v69, v62
	v_add_f32_e32 v69, v96, v105
	v_sub_f32_e32 v75, v131, v84
	v_add_f32_e32 v84, v56, v98
	v_sub_f32_e32 v82, v104, v99
	v_sub_f32_e32 v83, v108, v102
	v_fmac_f32_e32 v86, -0.5, v69
	v_add_f32_e32 v69, v87, v93
	v_fmac_f32_e32 v87, -0.5, v88
	v_sub_f32_e32 v88, v96, v105
	v_sub_f32_e32 v93, v93, v106
	v_add_f32_e32 v62, v84, v107
	v_add_f32_e32 v84, v98, v107
	;; [unrolled: 1-line block ×3, first 2 shown]
	v_fmamk_f32 v94, v88, 0xbf5db3d7, v87
	v_fmamk_f32 v95, v93, 0x3f5db3d7, v86
	v_fmac_f32_e32 v86, 0xbf5db3d7, v93
	v_fmac_f32_e32 v87, 0x3f5db3d7, v88
	v_fmamk_f32 v93, v85, 0xbf5db3d7, v91
	v_mul_f32_e32 v96, 0x3f5db3d7, v94
	v_fmac_f32_e32 v91, 0x3f5db3d7, v85
	v_add_f32_e32 v57, v90, v69
	v_mul_f32_e32 v97, -0.5, v87
	v_sub_f32_e32 v85, v90, v69
	v_fmac_f32_e32 v96, 0.5, v95
	v_mul_f32_e32 v95, 0xbf5db3d7, v95
	v_add_f32_e32 v69, v78, v80
	v_fmac_f32_e32 v97, 0xbf5db3d7, v86
	v_fmac_f32_e32 v95, 0.5, v94
	v_fma_f32 v94, -0.5, v84, v56
	v_mad_u16 v84, v72, 60, v73
	v_add_f32_e32 v56, v62, v89
	v_add_f32_e32 v73, v93, v95
	v_fmamk_f32 v88, v92, 0x3f5db3d7, v94
	v_fmac_f32_e32 v94, 0xbf5db3d7, v92
	v_mul_f32_e32 v92, -0.5, v86
	v_lshlrev_b32_sdwa v98, v149, v84 dst_sel:DWORD dst_unused:UNUSED_PAD src0_sel:DWORD src1_sel:WORD_0
	v_sub_f32_e32 v84, v62, v89
	v_add_f32_e32 v72, v88, v96
	v_add_f32_e32 v62, v71, v77
	v_fmac_f32_e32 v92, 0x3f5db3d7, v87
	v_add_f32_e32 v87, v91, v97
	v_add_f32_e32 v86, v94, v92
	ds_write2_b64 v109, v[82:83], v[74:75] offset0:40 offset1:50
	ds_write2_b64 v98, v[56:57], v[72:73] offset1:10
	ds_write2_b64 v98, v[86:87], v[84:85] offset0:20 offset1:30
	v_add_f32_e32 v75, v76, v81
	v_add_f32_e32 v82, v58, v70
	;; [unrolled: 1-line block ×3, first 2 shown]
	v_fmac_f32_e32 v63, -0.5, v69
	v_add_f32_e32 v69, v68, v76
	v_fmac_f32_e32 v68, -0.5, v75
	v_sub_f32_e32 v75, v78, v80
	v_add_f32_e32 v74, v59, v71
	v_sub_f32_e32 v76, v76, v81
	v_fmac_f32_e32 v59, -0.5, v62
	v_add_f32_e32 v62, v82, v79
	v_fmamk_f32 v82, v75, 0xbf5db3d7, v68
	v_add_f32_e32 v78, v70, v79
	v_fmamk_f32 v84, v76, 0x3f5db3d7, v63
	v_sub_f32_e32 v71, v71, v77
	v_add_f32_e32 v74, v74, v77
	v_mul_f32_e32 v77, 0x3f5db3d7, v82
	v_fmac_f32_e32 v63, 0xbf5db3d7, v76
	v_fmac_f32_e32 v68, 0x3f5db3d7, v75
	v_sub_f32_e32 v79, v70, v79
	v_mul_f32_e32 v85, 0xbf5db3d7, v84
	v_fma_f32 v58, -0.5, v78, v58
	v_fmac_f32_e32 v77, 0.5, v84
	v_mul_f32_e32 v76, -0.5, v63
	v_mul_f32_e32 v84, -0.5, v68
	v_add_f32_e32 v80, v83, v80
	v_add_f32_e32 v81, v69, v81
	v_fmac_f32_e32 v85, 0.5, v82
	v_mad_u16 v78, v60, 60, v61
	v_fmamk_f32 v82, v71, 0x3f5db3d7, v58
	v_fmamk_f32 v83, v79, 0xbf5db3d7, v59
	v_fmac_f32_e32 v58, 0xbf5db3d7, v71
	v_fmac_f32_e32 v59, 0x3f5db3d7, v79
	;; [unrolled: 1-line block ×4, first 2 shown]
	v_sub_f32_e32 v56, v88, v96
	v_sub_f32_e32 v57, v93, v95
	;; [unrolled: 1-line block ×4, first 2 shown]
	v_add_f32_e32 v61, v74, v81
	v_add_f32_e32 v69, v82, v77
	v_lshlrev_b32_sdwa v68, v149, v78 dst_sel:DWORD dst_unused:UNUSED_PAD src0_sel:DWORD src1_sel:WORD_0
	v_sub_f32_e32 v63, v74, v81
	v_add_f32_e32 v74, v58, v76
	v_add_f32_e32 v75, v59, v84
	v_sub_f32_e32 v59, v59, v84
	v_sub_f32_e32 v58, v58, v76
	;; [unrolled: 1-line block ×4, first 2 shown]
	v_add_f32_e32 v60, v62, v80
	v_add_f32_e32 v70, v83, v85
	v_sub_f32_e32 v62, v62, v80
	buffer_store_dword v98, off, s[20:23], 0 offset:404 ; 4-byte Folded Spill
	ds_write2_b64 v98, v[56:57], v[72:73] offset0:40 offset1:50
	ds_write2_b64 v68, v[60:61], v[69:70] offset1:10
	ds_write2_b64 v68, v[74:75], v[62:63] offset0:20 offset1:30
	buffer_store_dword v68, off, s[20:23], 0 offset:412 ; 4-byte Folded Spill
	ds_write2_b64 v68, v[76:77], v[58:59] offset0:40 offset1:50
	s_waitcnt lgkmcnt(0)
	s_waitcnt_vscnt null, 0x0
	s_barrier
	buffer_gl0_inv
	s_clause 0x2
	global_load_dwordx4 v[56:59], v[146:147], off offset:400
	global_load_dwordx4 v[60:63], v[146:147], off offset:416
	global_load_dwordx2 v[248:249], v[146:147], off offset:432
	ds_read2_b64 v[72:75], v232 offset0:80 offset1:140
	ds_read2_b64 v[80:83], v234 offset0:160 offset1:220
	;; [unrolled: 1-line block ×4, first 2 shown]
	ds_read2_b64 v[142:145], v242 offset1:60
	s_waitcnt vmcnt(2) lgkmcnt(4)
	v_mul_f32_e32 v86, v73, v59
	v_mul_f32_e32 v87, v72, v59
	;; [unrolled: 1-line block ×3, first 2 shown]
	s_waitcnt lgkmcnt(2)
	v_mul_f32_e32 v84, v69, v57
	v_mul_f32_e32 v160, v68, v57
	v_fma_f32 v86, v72, v58, -v86
	v_fmac_f32_e32 v87, v73, v58
	s_waitcnt vmcnt(1)
	v_mul_f32_e32 v72, v81, v63
	v_mul_f32_e32 v73, v83, v63
	;; [unrolled: 1-line block ×5, first 2 shown]
	v_fma_f32 v65, v80, v62, -v72
	v_fma_f32 v164, v82, v62, -v73
	v_mad_u64_u32 v[72:73], null, v163, 40, s[2:3]
	s_waitcnt lgkmcnt(1)
	v_mul_f32_e32 v89, v79, v61
	v_fmac_f32_e32 v154, v75, v58
	v_mul_f32_e32 v75, v80, v63
	v_mul_f32_e32 v158, v82, v63
	v_fma_f32 v161, v68, v56, -v84
	v_fmac_f32_e32 v160, v69, v56
	v_fma_f32 v153, v70, v56, -v85
	v_fmac_f32_e32 v152, v71, v56
	v_fma_f32 v159, v74, v58, -v88
	ds_read2_b64 v[68:71], v241 offset0:8 offset1:68
	v_fma_f32 v157, v78, v60, -v89
	v_fmac_f32_e32 v75, v81, v62
	v_fmac_f32_e32 v158, v83, v62
	s_clause 0x2
	global_load_dwordx4 v[80:83], v[72:73], off offset:400
	global_load_dwordx2 v[196:197], v[72:73], off offset:432
	global_load_dwordx4 v[88:91], v[72:73], off offset:416
	v_mul_f32_e32 v84, v77, v61
	v_mul_f32_e32 v85, v76, v61
	v_sub_f32_e32 v173, v86, v65
	v_sub_f32_e32 v185, v87, v75
	v_mul_f32_e32 v155, v78, v61
	v_fma_f32 v74, v76, v60, -v84
	v_fmac_f32_e32 v85, v77, v60
	v_fmac_f32_e32 v155, v79, v60
	s_waitcnt vmcnt(3) lgkmcnt(0)
	v_mul_f32_e32 v76, v69, v249
	v_mul_f32_e32 v165, v70, v249
	v_fma_f32 v76, v68, v248, -v76
	v_mul_f32_e32 v68, v68, v249
	v_fmac_f32_e32 v165, v71, v248
	v_sub_f32_e32 v186, v74, v76
	v_fmac_f32_e32 v68, v69, v248
	v_mul_f32_e32 v69, v71, v249
	v_sub_f32_e32 v188, v85, v68
	v_fma_f32 v166, v70, v248, -v69
	v_mov_b32_e32 v69, 0x8889
	v_mul_u32_u24_sdwa v70, v66, v69 dst_sel:DWORD dst_unused:UNUSED_PAD src0_sel:WORD_0 src1_sel:DWORD
	v_lshrrev_b32_e32 v70, 21, v70
	v_mul_lo_u16 v70, v70, 60
	v_sub_nc_u16 v151, v66, v70
	v_mul_u32_u24_sdwa v66, v67, v69 dst_sel:DWORD dst_unused:UNUSED_PAD src0_sel:WORD_0 src1_sel:DWORD
	v_add_f32_e32 v69, v160, v85
	v_add_f32_e32 v70, v87, v75
	v_mul_lo_u16 v64, v151, 40
	v_lshrrev_b32_e32 v66, 21, v66
	v_add_f32_e32 v174, v69, v68
	v_fma_f32 v171, -0.5, v70, v143
	v_and_b32_e32 v64, 0xffff, v64
	v_mul_lo_u16 v66, v66, 60
	v_fmamk_f32 v183, v173, 0xbf5db3d7, v171
	v_fmac_f32_e32 v171, 0x3f5db3d7, v173
	v_add_co_u32 v64, s0, s2, v64
	v_sub_nc_u16 v150, v67, v66
	v_add_f32_e32 v66, v142, v86
	v_add_f32_e32 v67, v86, v65
	v_add_f32_e32 v184, v66, v65
	v_add_f32_e32 v65, v74, v76
	v_add_f32_e32 v66, v161, v74
	v_fma_f32 v169, -0.5, v67, v142
	v_fmac_f32_e32 v161, -0.5, v65
	v_add_f32_e32 v65, v85, v68
	v_add_f32_e32 v189, v66, v76
	v_fmamk_f32 v172, v185, 0x3f5db3d7, v169
	v_mad_u64_u32 v[68:69], null, v162, 40, s[2:3]
	v_fmac_f32_e32 v160, -0.5, v65
	v_add_f32_e32 v65, v143, v87
	v_fmamk_f32 v66, v188, 0x3f5db3d7, v161
	v_add_f32_e32 v190, v184, v189
	v_fmac_f32_e32 v161, 0xbf5db3d7, v188
	v_fmac_f32_e32 v169, 0xbf5db3d7, v185
	v_add_f32_e32 v187, v65, v75
	v_fmamk_f32 v65, v186, 0xbf5db3d7, v160
	v_mul_f32_e32 v168, 0xbf5db3d7, v66
	v_fmac_f32_e32 v160, 0x3f5db3d7, v186
	v_mul_f32_e32 v173, -0.5, v161
	v_add_f32_e32 v191, v187, v174
	v_mul_f32_e32 v167, 0x3f5db3d7, v65
	v_fmac_f32_e32 v168, 0.5, v65
	v_mul_lo_u16 v65, v150, 40
	v_fmac_f32_e32 v173, 0x3f5db3d7, v160
	v_sub_f32_e32 v189, v184, v189
	v_fmac_f32_e32 v167, 0.5, v66
	v_add_f32_e32 v193, v183, v168
	v_and_b32_e32 v66, 0xffff, v65
	v_add_co_ci_u32_e64 v65, null, s3, 0, s0
	v_add_f32_e32 v192, v172, v167
	v_add_co_u32 v66, s0, s2, v66
	v_add_co_ci_u32_e64 v67, null, s3, 0, s0
	s_clause 0x8
	global_load_dwordx2 v[194:195], v[68:69], off offset:432
	global_load_dwordx4 v[84:87], v[68:69], off offset:416
	global_load_dwordx4 v[92:95], v[68:69], off offset:400
	global_load_dwordx2 v[177:178], v[64:65], off offset:432
	global_load_dwordx4 v[76:79], v[64:65], off offset:400
	global_load_dwordx4 v[68:71], v[64:65], off offset:416
	;; [unrolled: 3-line block ×3, first 2 shown]
	ds_read2_b64 v[120:123], v242 offset0:120 offset1:180
	ds_read2_b64 v[140:143], v179 offset0:96 offset1:156
	ds_read2_b64 v[136:139], v231 offset0:72 offset1:132
	ds_read2_b64 v[132:135], v230 offset0:176 offset1:236
	ds_read2_b64 v[128:131], v182 offset0:24 offset1:84
	ds_read2_b64 v[124:127], v241 offset0:128 offset1:188
	ds_read2_b64 v[96:99], v181 offset0:112 offset1:172
	ds_read2_b64 v[116:119], v180 offset0:88 offset1:148
	ds_read2_b64 v[112:115], v231 offset0:192 offset1:252
	ds_read2_b64 v[108:111], v234 offset0:40 offset1:100
	ds_read2_b64 v[104:107], v182 offset0:144 offset1:204
	ds_read2_b64 v[100:103], v245 offset0:120 offset1:180
	s_waitcnt vmcnt(0) lgkmcnt(0)
	s_barrier
	buffer_gl0_inv
	ds_write2_b64 v242, v[190:191], v[192:193] offset1:60
	v_sub_f32_e32 v190, v187, v174
	v_mul_f32_e32 v174, -0.5, v160
	v_add_f32_e32 v160, v169, v173
	v_fmac_f32_e32 v174, 0xbf5db3d7, v161
	v_add_f32_e32 v161, v171, v174
	ds_write2_b64 v242, v[160:161], v[189:190] offset0:120 offset1:180
	v_sub_f32_e32 v160, v172, v167
	v_sub_f32_e32 v161, v183, v168
	;; [unrolled: 1-line block ×4, first 2 shown]
	v_add_f32_e32 v169, v152, v155
	v_sub_f32_e32 v171, v157, v166
	ds_write2_b64 v181, v[160:161], v[167:168] offset0:112 offset1:172
	v_add_f32_e32 v160, v144, v159
	v_add_f32_e32 v161, v159, v164
	v_sub_f32_e32 v159, v159, v164
	v_add_f32_e32 v167, v145, v154
	v_add_f32_e32 v168, v153, v157
	;; [unrolled: 1-line block ×4, first 2 shown]
	v_fma_f32 v144, -0.5, v161, v144
	v_add_f32_e32 v167, v167, v158
	v_fmac_f32_e32 v145, -0.5, v164
	v_add_f32_e32 v164, v157, v166
	v_add_f32_e32 v166, v168, v166
	v_sub_f32_e32 v168, v155, v165
	v_fmamk_f32 v173, v159, 0xbf5db3d7, v145
	v_fmac_f32_e32 v153, -0.5, v164
	v_add_f32_e32 v164, v155, v165
	v_add_f32_e32 v165, v169, v165
	v_fmac_f32_e32 v145, 0x3f5db3d7, v159
	v_fmamk_f32 v155, v168, 0x3f5db3d7, v153
	v_fmac_f32_e32 v152, -0.5, v164
	v_sub_f32_e32 v164, v154, v158
	v_fmac_f32_e32 v153, 0xbf5db3d7, v168
	v_mul_f32_e32 v172, 0xbf5db3d7, v155
	v_fmamk_f32 v154, v171, 0xbf5db3d7, v152
	v_fmamk_f32 v161, v164, 0x3f5db3d7, v144
	v_fmac_f32_e32 v152, 0x3f5db3d7, v171
	v_fmac_f32_e32 v144, 0xbf5db3d7, v164
	v_mov_b32_e32 v164, v179
	v_mul_f32_e32 v169, 0x3f5db3d7, v154
	v_fmac_f32_e32 v172, 0.5, v154
	v_add_f32_e32 v154, v160, v166
	v_mov_b32_e32 v235, v164
	v_fmac_f32_e32 v169, 0.5, v155
	v_add_f32_e32 v155, v167, v165
	v_add_f32_e32 v158, v173, v172
	;; [unrolled: 1-line block ×3, first 2 shown]
	ds_write2_b64 v240, v[154:155], v[157:158] offset0:104 offset1:164
	v_mul_f32_e32 v157, -0.5, v153
	v_mul_f32_e32 v158, -0.5, v152
	v_sub_f32_e32 v154, v160, v166
	v_sub_f32_e32 v155, v167, v165
	v_lshlrev_b32_e32 v160, 3, v163
	v_fmac_f32_e32 v157, 0x3f5db3d7, v152
	v_fmac_f32_e32 v158, 0xbf5db3d7, v153
	v_add_nc_u32_e32 v159, 0x1400, v160
	v_add_f32_e32 v152, v144, v157
	v_add_f32_e32 v153, v145, v158
	v_sub_f32_e32 v145, v145, v158
	v_sub_f32_e32 v144, v144, v157
	ds_write2_b64 v179, v[152:153], v[154:155] offset0:96 offset1:156
	v_sub_f32_e32 v152, v161, v169
	v_sub_f32_e32 v153, v173, v172
	ds_write2_b64 v180, v[152:153], v[144:145] offset0:88 offset1:148
	v_mul_f32_e32 v154, v125, v197
	v_mul_f32_e32 v144, v137, v83
	;; [unrolled: 1-line block ×4, first 2 shown]
	v_fma_f32 v154, v124, v196, -v154
	v_mul_f32_e32 v124, v124, v197
	buffer_store_dword v196, off, s[20:23], 0 offset:456 ; 4-byte Folded Spill
	buffer_store_dword v197, off, s[20:23], 0 offset:460 ; 4-byte Folded Spill
	v_fma_f32 v144, v136, v82, -v144
	v_fma_f32 v145, v128, v90, -v145
	;; [unrolled: 1-line block ×3, first 2 shown]
	v_mul_f32_e32 v128, v128, v91
	buffer_store_dword v160, off, s[20:23], 0 offset:416 ; 4-byte Folded Spill
	v_add_f32_e32 v152, v120, v144
	v_add_f32_e32 v153, v144, v145
	v_sub_f32_e32 v144, v144, v145
	v_fmac_f32_e32 v128, v129, v90
	v_add_f32_e32 v152, v152, v145
	v_mul_f32_e32 v145, v133, v89
	v_fma_f32 v153, -0.5, v153, v120
	v_fma_f32 v145, v132, v88, -v145
	v_mul_f32_e32 v132, v132, v89
	v_add_f32_e32 v157, v145, v154
	v_fmac_f32_e32 v132, v133, v88
	v_mul_f32_e32 v133, v140, v81
	v_add_f32_e32 v158, v155, v145
	v_fmac_f32_e32 v155, -0.5, v157
	v_fmac_f32_e32 v133, v141, v80
	v_add_f32_e32 v140, v133, v132
	v_fmac_f32_e32 v124, v125, v196
	v_add_f32_e32 v125, v132, v124
	v_sub_f32_e32 v132, v132, v124
	v_add_f32_e32 v140, v140, v124
	v_fmac_f32_e32 v133, -0.5, v125
	v_mul_f32_e32 v125, v136, v83
	v_fmamk_f32 v141, v132, 0x3f5db3d7, v155
	v_fmac_f32_e32 v155, 0xbf5db3d7, v132
	v_add_nc_u32_e32 v132, 0x1800, v160
	v_fmac_f32_e32 v125, v137, v82
	v_add_f32_e32 v137, v158, v154
	v_add_f32_e32 v129, v121, v125
	v_sub_f32_e32 v136, v125, v128
	v_add_f32_e32 v125, v125, v128
	v_add_f32_e32 v120, v152, v137
	;; [unrolled: 1-line block ×3, first 2 shown]
	v_sub_f32_e32 v129, v145, v154
	v_fma_f32 v154, -0.5, v125, v121
	v_fmamk_f32 v157, v136, 0x3f5db3d7, v153
	v_fmac_f32_e32 v153, 0xbf5db3d7, v136
	v_add_f32_e32 v121, v128, v140
	v_fmamk_f32 v124, v129, 0xbf5db3d7, v133
	v_fmamk_f32 v158, v144, 0xbf5db3d7, v154
	v_fmac_f32_e32 v133, 0x3f5db3d7, v129
	v_fmac_f32_e32 v154, 0x3f5db3d7, v144
	v_mul_f32_e32 v145, 0x3f5db3d7, v124
	v_mul_f32_e32 v129, -0.5, v133
	v_fmac_f32_e32 v145, 0.5, v141
	v_mul_f32_e32 v141, 0xbf5db3d7, v141
	v_fmac_f32_e32 v129, 0xbf5db3d7, v155
	v_fmac_f32_e32 v141, 0.5, v124
	v_add_f32_e32 v124, v157, v145
	v_add_f32_e32 v125, v158, v141
	ds_write2_b64 v159, v[120:121], v[124:125] offset0:80 offset1:140
	v_sub_f32_e32 v121, v128, v140
	v_mul_f32_e32 v128, -0.5, v155
	v_sub_f32_e32 v120, v152, v137
	v_add_f32_e32 v125, v154, v129
	v_fmac_f32_e32 v128, 0x3f5db3d7, v133
	v_add_f32_e32 v124, v153, v128
	ds_write2_b64 v132, v[124:125], v[120:121] offset0:72 offset1:132
	v_sub_f32_e32 v120, v157, v145
	v_sub_f32_e32 v121, v158, v141
	;; [unrolled: 1-line block ×4, first 2 shown]
	v_mul_f32_e32 v129, v142, v93
	v_lshlrev_b32_e32 v141, 3, v162
	ds_write2_b64 v132, v[120:121], v[124:125] offset0:192 offset1:252
	v_mul_f32_e32 v132, v131, v87
	v_mul_f32_e32 v120, v143, v93
	;; [unrolled: 1-line block ×5, first 2 shown]
	v_fma_f32 v132, v130, v86, -v132
	v_mul_f32_e32 v130, v130, v87
	v_fma_f32 v128, v142, v92, -v120
	v_mul_f32_e32 v120, v139, v95
	v_fmac_f32_e32 v121, v139, v94
	v_fma_f32 v124, v134, v84, -v124
	v_fmac_f32_e32 v130, v131, v86
	v_mul_f32_e32 v131, v127, v195
	v_fma_f32 v120, v138, v94, -v120
	v_add_f32_e32 v133, v123, v121
	v_fmac_f32_e32 v125, v135, v84
	v_fmac_f32_e32 v129, v143, v92
	v_fma_f32 v131, v126, v194, -v131
	v_mul_f32_e32 v126, v126, v195
	buffer_store_dword v194, off, s[20:23], 0 offset:448 ; 4-byte Folded Spill
	buffer_store_dword v195, off, s[20:23], 0 offset:452 ; 4-byte Folded Spill
	v_add_f32_e32 v134, v120, v132
	v_add_f32_e32 v135, v128, v124
	;; [unrolled: 1-line block ×3, first 2 shown]
	v_sub_f32_e32 v137, v121, v130
	v_add_nc_u32_e32 v140, 0x2000, v141
	buffer_store_dword v141, off, s[20:23], 0 offset:420 ; 4-byte Folded Spill
	v_fmac_f32_e32 v126, v127, v194
	v_add_f32_e32 v127, v121, v130
	v_add_f32_e32 v130, v133, v130
	v_sub_f32_e32 v133, v124, v131
	v_fmac_f32_e32 v123, -0.5, v127
	v_add_f32_e32 v127, v122, v120
	v_fma_f32 v122, -0.5, v134, v122
	v_add_f32_e32 v127, v127, v132
	v_sub_f32_e32 v132, v120, v132
	v_add_f32_e32 v120, v124, v131
	v_add_f32_e32 v131, v135, v131
	v_sub_f32_e32 v135, v125, v126
	v_fmamk_f32 v134, v137, 0x3f5db3d7, v122
	v_fmamk_f32 v139, v132, 0xbf5db3d7, v123
	v_fmac_f32_e32 v128, -0.5, v120
	v_add_f32_e32 v120, v125, v126
	v_add_f32_e32 v126, v136, v126
	v_fmac_f32_e32 v122, 0xbf5db3d7, v137
	v_fmac_f32_e32 v123, 0x3f5db3d7, v132
	v_fmamk_f32 v121, v135, 0x3f5db3d7, v128
	v_fmac_f32_e32 v129, -0.5, v120
	v_fmac_f32_e32 v128, 0xbf5db3d7, v135
	v_mul_f32_e32 v138, 0xbf5db3d7, v121
	v_fmamk_f32 v120, v133, 0xbf5db3d7, v129
	v_fmac_f32_e32 v129, 0x3f5db3d7, v133
	v_mul_f32_e32 v136, 0x3f5db3d7, v120
	v_fmac_f32_e32 v138, 0.5, v120
	v_add_f32_e32 v120, v127, v131
	v_fmac_f32_e32 v136, 0.5, v121
	v_add_f32_e32 v121, v130, v126
	v_add_f32_e32 v125, v139, v138
	;; [unrolled: 1-line block ×3, first 2 shown]
	ds_write2_b64 v140, v[120:121], v[124:125] offset0:56 offset1:116
	v_sub_f32_e32 v120, v127, v131
	v_sub_f32_e32 v121, v130, v126
	v_mul_f32_e32 v126, -0.5, v128
	v_mul_f32_e32 v127, -0.5, v129
	v_fmac_f32_e32 v126, 0x3f5db3d7, v129
	v_fmac_f32_e32 v127, 0xbf5db3d7, v128
	v_lshlrev_b32_sdwa v129, v149, v151 dst_sel:DWORD dst_unused:UNUSED_PAD src0_sel:DWORD src1_sel:WORD_0
	v_add_f32_e32 v124, v122, v126
	v_add_f32_e32 v125, v123, v127
	v_add_nc_u32_e32 v128, 0x2800, v129
	ds_write2_b64 v140, v[124:125], v[120:121] offset0:176 offset1:236
	v_sub_f32_e32 v121, v123, v127
	v_sub_f32_e32 v120, v122, v126
	;; [unrolled: 1-line block ×4, first 2 shown]
	v_add_nc_u32_e32 v124, 0x2800, v141
	v_mul_f32_e32 v125, v117, v77
	v_mad_u64_u32 v[140:141], null, v148, 40, s[2:3]
	s_add_u32 s2, s16, 0x4380
	ds_write2_b64 v124, v[122:123], v[120:121] offset0:40 offset1:100
	v_mul_f32_e32 v124, v101, v178
	v_mul_f32_e32 v120, v113, v79
	;; [unrolled: 1-line block ×3, first 2 shown]
	v_fma_f32 v125, v116, v76, -v125
	s_addc_u32 s3, s17, 0
	v_fma_f32 v124, v100, v177, -v124
	v_mul_f32_e32 v100, v100, v178
	buffer_store_dword v177, off, s[20:23], 0 offset:440 ; 4-byte Folded Spill
	buffer_store_dword v178, off, s[20:23], 0 offset:444 ; 4-byte Folded Spill
	v_fma_f32 v120, v112, v78, -v120
	v_fma_f32 v121, v104, v70, -v121
	v_mul_f32_e32 v104, v104, v71
	buffer_store_dword v129, off, s[20:23], 0 offset:424 ; 4-byte Folded Spill
	v_add_f32_e32 v122, v96, v120
	v_add_f32_e32 v123, v120, v121
	v_sub_f32_e32 v120, v120, v121
	v_fmac_f32_e32 v104, v105, v70
	v_add_f32_e32 v122, v122, v121
	v_mul_f32_e32 v121, v109, v69
	v_fma_f32 v123, -0.5, v123, v96
	v_fma_f32 v121, v108, v68, -v121
	v_mul_f32_e32 v108, v108, v69
	v_add_f32_e32 v126, v121, v124
	v_fmac_f32_e32 v108, v109, v68
	v_mul_f32_e32 v109, v116, v77
	v_add_f32_e32 v127, v125, v121
	v_fmac_f32_e32 v125, -0.5, v126
	v_fmac_f32_e32 v109, v117, v76
	v_add_f32_e32 v116, v109, v108
	v_fmac_f32_e32 v100, v101, v177
	v_add_f32_e32 v101, v108, v100
	v_sub_f32_e32 v108, v108, v100
	v_add_f32_e32 v116, v116, v100
	v_fmac_f32_e32 v109, -0.5, v101
	v_mul_f32_e32 v101, v112, v79
	v_fmamk_f32 v117, v108, 0x3f5db3d7, v125
	v_fmac_f32_e32 v125, 0xbf5db3d7, v108
	v_add_nc_u32_e32 v108, 0x3000, v129
	v_fmac_f32_e32 v101, v113, v78
	v_add_f32_e32 v113, v127, v124
	v_add_f32_e32 v105, v97, v101
	v_sub_f32_e32 v112, v101, v104
	v_add_f32_e32 v101, v101, v104
	v_add_f32_e32 v96, v122, v113
	;; [unrolled: 1-line block ×3, first 2 shown]
	v_sub_f32_e32 v105, v121, v124
	v_fma_f32 v124, -0.5, v101, v97
	v_fmamk_f32 v126, v112, 0x3f5db3d7, v123
	v_fmac_f32_e32 v123, 0xbf5db3d7, v112
	v_add_f32_e32 v97, v104, v116
	v_fmamk_f32 v100, v105, 0xbf5db3d7, v109
	v_fmamk_f32 v127, v120, 0xbf5db3d7, v124
	v_fmac_f32_e32 v109, 0x3f5db3d7, v105
	v_fmac_f32_e32 v124, 0x3f5db3d7, v120
	v_mul_f32_e32 v121, 0x3f5db3d7, v100
	v_mul_f32_e32 v105, -0.5, v109
	v_fmac_f32_e32 v121, 0.5, v117
	v_mul_f32_e32 v117, 0xbf5db3d7, v117
	v_fmac_f32_e32 v105, 0xbf5db3d7, v125
	v_fmac_f32_e32 v117, 0.5, v100
	v_add_f32_e32 v100, v126, v121
	v_add_f32_e32 v101, v127, v117
	ds_write2_b64 v128, v[96:97], v[100:101] offset0:160 offset1:220
	v_sub_f32_e32 v97, v104, v116
	v_mul_f32_e32 v104, -0.5, v125
	v_sub_f32_e32 v96, v122, v113
	v_add_f32_e32 v101, v124, v105
	v_fmac_f32_e32 v104, 0x3f5db3d7, v109
	v_add_f32_e32 v100, v123, v104
	ds_write2_b64 v108, v[100:101], v[96:97] offset0:24 offset1:84
	v_sub_f32_e32 v96, v126, v121
	v_sub_f32_e32 v97, v127, v117
	;; [unrolled: 1-line block ×4, first 2 shown]
	v_mul_f32_e32 v105, v118, v73
	v_lshlrev_b32_sdwa v117, v149, v150 dst_sel:DWORD dst_unused:UNUSED_PAD src0_sel:DWORD src1_sel:WORD_0
	ds_write2_b64 v108, v[96:97], v[100:101] offset0:144 offset1:204
	v_mul_f32_e32 v108, v107, v67
	v_mul_f32_e32 v96, v119, v73
	;; [unrolled: 1-line block ×5, first 2 shown]
	v_fma_f32 v108, v106, v66, -v108
	v_mul_f32_e32 v106, v106, v67
	v_fma_f32 v104, v118, v72, -v96
	v_mul_f32_e32 v96, v115, v75
	v_fmac_f32_e32 v97, v115, v74
	v_fma_f32 v100, v110, v64, -v100
	v_fmac_f32_e32 v106, v107, v66
	v_mul_f32_e32 v107, v103, v176
	v_fma_f32 v96, v114, v74, -v96
	v_add_f32_e32 v109, v99, v97
	v_fmac_f32_e32 v101, v111, v64
	v_fmac_f32_e32 v105, v119, v72
	v_fma_f32 v107, v102, v175, -v107
	v_mul_f32_e32 v102, v102, v176
	buffer_store_dword v175, off, s[20:23], 0 offset:432 ; 4-byte Folded Spill
	buffer_store_dword v176, off, s[20:23], 0 offset:436 ; 4-byte Folded Spill
	v_add_f32_e32 v110, v96, v108
	v_add_f32_e32 v111, v104, v100
	;; [unrolled: 1-line block ×3, first 2 shown]
	v_sub_f32_e32 v113, v97, v106
	v_add_nc_u32_e32 v116, 0x3800, v117
	buffer_store_dword v117, off, s[20:23], 0 offset:428 ; 4-byte Folded Spill
	v_fmac_f32_e32 v102, v103, v175
	v_add_f32_e32 v103, v97, v106
	v_add_f32_e32 v106, v109, v106
	v_sub_f32_e32 v109, v100, v107
	v_fmac_f32_e32 v99, -0.5, v103
	v_add_f32_e32 v103, v98, v96
	v_fma_f32 v98, -0.5, v110, v98
	v_add_f32_e32 v103, v103, v108
	v_sub_f32_e32 v108, v96, v108
	v_add_f32_e32 v96, v100, v107
	v_add_f32_e32 v107, v111, v107
	v_sub_f32_e32 v111, v101, v102
	v_fmamk_f32 v110, v113, 0x3f5db3d7, v98
	v_fmamk_f32 v115, v108, 0xbf5db3d7, v99
	v_fmac_f32_e32 v104, -0.5, v96
	v_add_f32_e32 v96, v101, v102
	v_add_f32_e32 v102, v112, v102
	v_fmac_f32_e32 v98, 0xbf5db3d7, v113
	v_fmac_f32_e32 v99, 0x3f5db3d7, v108
	v_fmamk_f32 v97, v111, 0x3f5db3d7, v104
	v_fmac_f32_e32 v105, -0.5, v96
	v_fmac_f32_e32 v104, 0xbf5db3d7, v111
	v_mul_f32_e32 v114, 0xbf5db3d7, v97
	v_fmamk_f32 v96, v109, 0xbf5db3d7, v105
	v_fmac_f32_e32 v105, 0x3f5db3d7, v109
	v_mul_f32_e32 v112, 0x3f5db3d7, v96
	v_fmac_f32_e32 v114, 0.5, v96
	v_add_f32_e32 v96, v103, v107
	v_fmac_f32_e32 v112, 0.5, v97
	v_add_f32_e32 v97, v106, v102
	v_add_f32_e32 v101, v115, v114
	;; [unrolled: 1-line block ×3, first 2 shown]
	ds_write2_b64 v116, v[96:97], v[100:101] offset0:8 offset1:68
	v_sub_f32_e32 v96, v103, v107
	v_sub_f32_e32 v97, v106, v102
	v_mul_f32_e32 v102, -0.5, v104
	v_mul_f32_e32 v103, -0.5, v105
	v_fmac_f32_e32 v102, 0x3f5db3d7, v105
	v_fmac_f32_e32 v103, 0xbf5db3d7, v104
	v_add_f32_e32 v100, v98, v102
	v_add_f32_e32 v101, v99, v103
	ds_write2_b64 v116, v[100:101], v[96:97] offset0:128 offset1:188
	v_sub_f32_e32 v97, v99, v103
	v_sub_f32_e32 v96, v98, v102
	;; [unrolled: 1-line block ×4, first 2 shown]
	v_add_nc_u32_e32 v100, 0x3c00, v117
	ds_write2_b64 v100, v[98:99], v[96:97] offset0:120 offset1:180
	v_add_co_u32 v96, s0, 0x800, v146
	v_add_co_ci_u32_e64 v97, s0, 0, v147, s0
	v_add_co_u32 v108, s0, 0x800, v140
	v_add_co_ci_u32_e64 v109, s0, 0, v141, s0
	;; [unrolled: 2-line block ×3, first 2 shown]
	s_waitcnt lgkmcnt(0)
	s_waitcnt_vscnt null, 0x0
	s_barrier
	buffer_gl0_inv
	s_clause 0x2
	global_load_dwordx4 v[104:107], v[96:97], off offset:752
	global_load_dwordx2 v[117:118], v[98:99], off offset:32
	global_load_dwordx4 v[96:99], v[98:99], off offset:16
	ds_read2_b64 v[100:103], v240 offset0:104 offset1:164
	s_waitcnt vmcnt(2) lgkmcnt(0)
	v_mul_f32_e32 v110, v101, v105
	v_mul_f32_e32 v153, v100, v105
	v_fma_f32 v152, v100, v104, -v110
	global_load_dwordx4 v[108:111], v[108:109], off offset:752
	v_fmac_f32_e32 v153, v101, v104
	s_waitcnt vmcnt(0)
	v_mul_f32_e32 v100, v103, v109
	v_mul_f32_e32 v158, v102, v109
	v_fma_f32 v157, v102, v108, -v100
	v_fmac_f32_e32 v158, v103, v108
	ds_read2_b64 v[100:103], v232 offset0:80 offset1:140
	s_waitcnt lgkmcnt(0)
	v_mul_f32_e32 v112, v101, v107
	v_mul_f32_e32 v151, v100, v107
	;; [unrolled: 1-line block ×3, first 2 shown]
	v_fma_f32 v150, v100, v106, -v112
	v_mul_f32_e32 v100, v103, v111
	v_fmac_f32_e32 v151, v101, v106
	v_fmac_f32_e32 v169, v103, v110
	v_fma_f32 v172, v102, v110, -v100
	v_add_co_u32 v100, s0, 0xaf0, v146
	v_add_co_ci_u32_e64 v101, s0, 0, v147, s0
	s_clause 0x1
	global_load_dwordx2 v[119:120], v[100:101], off offset:32
	global_load_dwordx4 v[112:115], v[100:101], off offset:16
	ds_read2_b64 v[100:103], v230 offset0:56 offset1:116
	s_waitcnt lgkmcnt(0)
	v_mul_f32_e32 v183, v102, v97
	v_fmac_f32_e32 v183, v103, v96
	s_waitcnt vmcnt(0)
	v_mul_f32_e32 v116, v101, v113
	v_mul_f32_e32 v175, v100, v113
	v_fma_f32 v174, v100, v112, -v116
	v_mul_f32_e32 v100, v103, v97
	v_fmac_f32_e32 v175, v101, v112
	v_add_f32_e32 v200, v152, v174
	v_fma_f32 v191, v102, v96, -v100
	ds_read2_b64 v[100:103], v234 offset0:160 offset1:220
	s_waitcnt lgkmcnt(0)
	v_mul_f32_e32 v116, v101, v115
	v_mul_f32_e32 v177, v100, v115
	;; [unrolled: 1-line block ×3, first 2 shown]
	v_fma_f32 v176, v100, v114, -v116
	v_mul_f32_e32 v100, v103, v99
	v_fmac_f32_e32 v177, v101, v114
	v_fmac_f32_e32 v193, v103, v98
	v_fma_f32 v194, v102, v98, -v100
	ds_read2_b64 v[100:103], v241 offset0:8 offset1:68
	s_waitcnt lgkmcnt(0)
	v_mul_f32_e32 v116, v101, v120
	v_mul_f32_e32 v179, v100, v120
	;; [unrolled: 1-line block ×3, first 2 shown]
	v_fma_f32 v178, v100, v119, -v116
	buffer_store_dword v119, off, s[20:23], 0 offset:472 ; 4-byte Folded Spill
	buffer_store_dword v120, off, s[20:23], 0 offset:476 ; 4-byte Folded Spill
	v_mul_f32_e32 v100, v103, v118
	v_add_f32_e32 v200, v200, v178
	v_fma_f32 v203, v102, v117, -v100
	buffer_store_dword v117, off, s[20:23], 0 offset:464 ; 4-byte Folded Spill
	buffer_store_dword v118, off, s[20:23], 0 offset:468 ; 4-byte Folded Spill
	v_add_co_u32 v100, s0, 0x1000, v140
	v_fmac_f32_e32 v179, v101, v119
	v_add_co_ci_u32_e64 v101, s0, 0, v141, s0
	v_add_co_u32 v120, s0, 0x1800, v140
	v_add_co_ci_u32_e64 v121, s0, 0, v141, s0
	v_add_co_u32 v122, s0, 0x1db0, v140
	v_add_co_ci_u32_e64 v123, s0, 0, v141, s0
	global_load_dwordx4 v[124:127], v[100:101], off offset:1104
	v_fmac_f32_e32 v198, v103, v117
	ds_read2_b64 v[116:119], v164 offset0:96 offset1:156
	s_clause 0x2
	global_load_dwordx4 v[100:103], v[122:123], off offset:16
	global_load_dwordx2 v[133:134], v[122:123], off offset:32
	global_load_dwordx4 v[120:123], v[120:121], off offset:1456
	s_waitcnt vmcnt(3) lgkmcnt(0)
	v_mul_f32_e32 v128, v117, v125
	v_mul_f32_e32 v192, v116, v125
	s_waitcnt vmcnt(0)
	v_mul_f32_e32 v155, v118, v121
	v_fma_f32 v189, v116, v124, -v128
	v_mul_f32_e32 v116, v119, v121
	v_fmac_f32_e32 v192, v117, v124
	v_fmac_f32_e32 v155, v119, v120
	v_fma_f32 v154, v118, v120, -v116
	ds_read2_b64 v[116:119], v231 offset0:72 offset1:132
	s_waitcnt lgkmcnt(0)
	v_mul_f32_e32 v128, v117, v127
	v_mul_f32_e32 v202, v116, v127
	;; [unrolled: 1-line block ×3, first 2 shown]
	v_fma_f32 v204, v116, v126, -v128
	v_mul_f32_e32 v116, v119, v123
	v_fmac_f32_e32 v202, v117, v126
	v_fmac_f32_e32 v162, v119, v122
	v_fma_f32 v161, v118, v122, -v116
	v_add_co_u32 v116, s0, 0x1450, v140
	v_add_co_ci_u32_e64 v117, s0, 0, v141, s0
	s_clause 0x1
	global_load_dwordx2 v[135:136], v[116:117], off offset:32
	global_load_dwordx4 v[128:131], v[116:117], off offset:16
	ds_read2_b64 v[116:119], v230 offset0:176 offset1:236
	s_waitcnt lgkmcnt(0)
	v_mul_f32_e32 v165, v118, v101
	v_fmac_f32_e32 v165, v119, v100
	s_waitcnt vmcnt(0)
	v_mul_f32_e32 v132, v117, v129
	v_mul_f32_e32 v216, v116, v129
	v_fma_f32 v215, v116, v128, -v132
	v_mul_f32_e32 v116, v119, v101
	v_fmac_f32_e32 v216, v117, v128
	v_fma_f32 v164, v118, v100, -v116
	ds_read2_b64 v[116:119], v182 offset0:24 offset1:84
	s_waitcnt lgkmcnt(0)
	v_mul_f32_e32 v132, v117, v131
	v_mul_f32_e32 v207, v116, v131
	;; [unrolled: 1-line block ×3, first 2 shown]
	v_fma_f32 v208, v116, v130, -v132
	v_mul_f32_e32 v116, v119, v103
	v_fmac_f32_e32 v207, v117, v130
	v_fmac_f32_e32 v168, v119, v102
	v_fma_f32 v167, v118, v102, -v116
	ds_read2_b64 v[116:119], v241 offset0:128 offset1:188
	s_waitcnt lgkmcnt(0)
	v_mul_f32_e32 v132, v117, v136
	v_mul_f32_e32 v212, v116, v136
	;; [unrolled: 1-line block ×3, first 2 shown]
	v_fma_f32 v211, v116, v135, -v132
	v_mul_f32_e32 v116, v119, v134
	buffer_store_dword v135, off, s[20:23], 0 offset:488 ; 4-byte Folded Spill
	buffer_store_dword v136, off, s[20:23], 0 offset:492 ; 4-byte Folded Spill
	v_fma_f32 v186, v118, v133, -v116
	buffer_store_dword v133, off, s[20:23], 0 offset:480 ; 4-byte Folded Spill
	buffer_store_dword v134, off, s[20:23], 0 offset:484 ; 4-byte Folded Spill
	v_add_co_u32 v116, s0, 0x2000, v140
	ds_read2_b64 v[142:145], v180 offset0:88 offset1:148
	v_fmac_f32_e32 v212, v117, v135
	v_add_co_ci_u32_e64 v117, s0, 0, v141, s0
	v_add_co_u32 v132, s0, 0x3000, v140
	v_fmac_f32_e32 v187, v119, v133
	v_add_co_ci_u32_e64 v133, s0, 0, v141, s0
	v_add_co_u32 v134, s0, 0x3070, v140
	v_add_co_ci_u32_e64 v135, s0, 0, v141, s0
	global_load_dwordx4 v[136:139], v[116:117], off offset:1808
	v_add_co_u32 v140, s0, 0x2710, v140
	s_clause 0x2
	global_load_dwordx4 v[116:119], v[134:135], off offset:16
	global_load_dwordx2 v[217:218], v[134:135], off offset:32
	global_load_dwordx4 v[132:135], v[132:133], off offset:112
	v_add_co_ci_u32_e64 v141, s0, 0, v141, s0
	s_waitcnt vmcnt(3) lgkmcnt(0)
	v_mul_f32_e32 v146, v143, v137
	v_mul_f32_e32 v190, v142, v137
	s_waitcnt vmcnt(0)
	v_mul_f32_e32 v160, v144, v133
	v_fma_f32 v188, v142, v136, -v146
	v_mul_f32_e32 v142, v145, v133
	v_fmac_f32_e32 v190, v143, v136
	v_fmac_f32_e32 v160, v145, v132
	v_fma_f32 v159, v144, v132, -v142
	ds_read2_b64 v[142:145], v231 offset0:192 offset1:252
	s_waitcnt lgkmcnt(0)
	v_mul_f32_e32 v146, v143, v139
	v_mul_f32_e32 v197, v142, v139
	;; [unrolled: 1-line block ×3, first 2 shown]
	v_fma_f32 v199, v142, v138, -v146
	v_mul_f32_e32 v142, v145, v135
	v_fmac_f32_e32 v197, v143, v138
	v_fmac_f32_e32 v163, v145, v134
	v_fma_f32 v173, v144, v134, -v142
	s_clause 0x1
	global_load_dwordx2 v[219:220], v[140:141], off offset:32
	global_load_dwordx4 v[140:143], v[140:141], off offset:16
	ds_read2_b64 v[144:147], v234 offset0:40 offset1:100
	s_waitcnt lgkmcnt(0)
	v_mul_f32_e32 v184, v146, v117
	v_fmac_f32_e32 v184, v147, v116
	s_waitcnt vmcnt(0)
	v_mul_f32_e32 v148, v145, v141
	v_mul_f32_e32 v214, v144, v141
	v_fma_f32 v213, v144, v140, -v148
	v_mul_f32_e32 v144, v147, v117
	v_fmac_f32_e32 v214, v145, v140
	v_fma_f32 v185, v146, v116, -v144
	ds_read2_b64 v[144:147], v182 offset0:144 offset1:204
	s_waitcnt lgkmcnt(0)
	v_mul_f32_e32 v148, v145, v143
	v_mul_f32_e32 v205, v144, v143
	;; [unrolled: 1-line block ×3, first 2 shown]
	v_fma_f32 v206, v144, v142, -v148
	v_mul_f32_e32 v144, v147, v119
	v_fmac_f32_e32 v205, v145, v142
	v_fmac_f32_e32 v166, v147, v118
	v_fma_f32 v195, v146, v118, -v144
	ds_read2_b64 v[144:147], v245 offset0:120 offset1:180
	s_waitcnt lgkmcnt(0)
	v_mul_f32_e32 v148, v145, v220
	v_mul_f32_e32 v210, v144, v220
	;; [unrolled: 1-line block ×3, first 2 shown]
	v_fma_f32 v209, v144, v219, -v148
	v_mul_f32_e32 v144, v147, v218
	buffer_store_dword v219, off, s[20:23], 0 offset:504 ; 4-byte Folded Spill
	buffer_store_dword v220, off, s[20:23], 0 offset:508 ; 4-byte Folded Spill
	v_fma_f32 v196, v146, v217, -v144
	buffer_store_dword v217, off, s[20:23], 0 offset:496 ; 4-byte Folded Spill
	buffer_store_dword v218, off, s[20:23], 0 offset:500 ; 4-byte Folded Spill
	v_fmac_f32_e32 v210, v145, v219
	v_fmac_f32_e32 v171, v147, v217
	ds_read2_b64 v[146:149], v242 offset1:60
	v_add_f32_e32 v217, v153, v175
	v_add_f32_e32 v220, v217, v179
	s_waitcnt lgkmcnt(0)
	v_add_f32_e32 v144, v146, v150
	v_add_f32_e32 v145, v147, v151
	;; [unrolled: 1-line block ×6, first 2 shown]
	v_sub_f32_e32 v219, v144, v200
	v_sub_f32_e32 v220, v145, v220
	;; [unrolled: 1-line block ×3, first 2 shown]
	v_add_f32_e32 v145, v151, v177
	v_add_f32_e32 v151, v175, v179
	v_add_f32_e32 v177, v150, v176
	v_sub_f32_e32 v176, v150, v176
	v_sub_f32_e32 v175, v175, v179
	v_fma_f32 v145, -0.5, v145, v147
	v_fmac_f32_e32 v153, -0.5, v151
	v_add_f32_e32 v151, v174, v178
	v_sub_f32_e32 v174, v174, v178
	v_fma_f32 v146, -0.5, v177, v146
	v_fmamk_f32 v177, v176, 0xbf5db3d7, v145
	v_fmac_f32_e32 v145, 0x3f5db3d7, v176
	v_fmac_f32_e32 v152, -0.5, v151
	v_fmamk_f32 v150, v174, 0xbf5db3d7, v153
	v_fmamk_f32 v147, v144, 0x3f5db3d7, v146
	v_fmac_f32_e32 v153, 0x3f5db3d7, v174
	v_fmac_f32_e32 v146, 0xbf5db3d7, v144
	v_fmamk_f32 v151, v175, 0x3f5db3d7, v152
	v_mul_f32_e32 v178, 0x3f5db3d7, v150
	v_fmac_f32_e32 v152, 0xbf5db3d7, v175
	v_add_f32_e32 v174, v148, v172
	v_add_f32_e32 v175, v149, v169
	v_mul_f32_e32 v179, 0xbf5db3d7, v151
	v_fmac_f32_e32 v178, 0.5, v151
	v_mul_f32_e32 v144, -0.5, v152
	v_add_f32_e32 v176, v157, v191
	v_add_f32_e32 v174, v174, v194
	v_fmac_f32_e32 v179, 0.5, v150
	v_add_f32_e32 v150, v147, v178
	v_sub_f32_e32 v221, v147, v178
	v_mul_f32_e32 v147, -0.5, v153
	v_fmac_f32_e32 v144, 0x3f5db3d7, v153
	v_add_f32_e32 v151, v177, v179
	v_sub_f32_e32 v222, v177, v179
	v_add_f32_e32 v177, v158, v183
	v_fmac_f32_e32 v147, 0xbf5db3d7, v152
	v_add_f32_e32 v152, v146, v144
	v_add_f32_e32 v175, v175, v193
	;; [unrolled: 1-line block ×5, first 2 shown]
	v_sub_f32_e32 v223, v146, v144
	v_sub_f32_e32 v224, v145, v147
	ds_read2_b64 v[144:147], v242 offset0:120 offset1:180
	ds_write_b64 v242, v[150:151] offset:2880
	ds_write_b64 v242, v[152:153] offset:5760
	ds_read2_b64 v[150:153], v181 offset0:112 offset1:172
	ds_write_b64 v242, v[219:220] offset:8640
	ds_write_b64 v242, v[221:222] offset:11520
	;; [unrolled: 1-line block ×3, first 2 shown]
	v_add_f32_e32 v219, v174, v176
	v_add_f32_e32 v220, v175, v177
	v_sub_f32_e32 v221, v204, v208
	ds_write2_b64 v242, v[217:218], v[219:220] offset1:60
	v_sub_f32_e32 v217, v174, v176
	v_add_f32_e32 v174, v169, v193
	v_sub_f32_e32 v218, v175, v177
	v_sub_f32_e32 v175, v191, v203
	v_add_f32_e32 v176, v172, v194
	v_sub_f32_e32 v172, v172, v194
	v_fmac_f32_e32 v149, -0.5, v174
	v_add_f32_e32 v174, v183, v198
	v_sub_f32_e32 v169, v169, v193
	v_fma_f32 v148, -0.5, v176, v148
	v_add_f32_e32 v176, v204, v208
	ds_write_b64 v242, v[217:218] offset:9120
	v_fmac_f32_e32 v158, -0.5, v174
	v_add_f32_e32 v174, v191, v203
	v_sub_f32_e32 v191, v216, v212
	s_waitcnt lgkmcnt(8)
	v_fma_f32 v176, -0.5, v176, v144
	v_fmamk_f32 v218, v169, 0x3f5db3d7, v148
	v_fmamk_f32 v177, v175, 0xbf5db3d7, v158
	v_fmac_f32_e32 v157, -0.5, v174
	v_sub_f32_e32 v174, v183, v198
	v_add_f32_e32 v183, v192, v216
	v_add_f32_e32 v198, v189, v215
	v_mul_f32_e32 v179, 0x3f5db3d7, v177
	v_fmac_f32_e32 v158, 0x3f5db3d7, v175
	v_fmamk_f32 v178, v174, 0x3f5db3d7, v157
	v_fmac_f32_e32 v157, 0xbf5db3d7, v174
	v_fmamk_f32 v219, v172, 0xbf5db3d7, v149
	v_sub_f32_e32 v220, v202, v207
	v_fmac_f32_e32 v149, 0x3f5db3d7, v172
	v_fmac_f32_e32 v179, 0.5, v178
	v_mul_f32_e32 v178, 0xbf5db3d7, v178
	v_fmac_f32_e32 v148, 0xbf5db3d7, v169
	v_mul_f32_e32 v169, -0.5, v158
	v_mul_f32_e32 v172, -0.5, v157
	v_fmamk_f32 v222, v220, 0x3f5db3d7, v176
	v_fmac_f32_e32 v178, 0.5, v177
	v_add_f32_e32 v177, v216, v212
	v_fmac_f32_e32 v169, 0xbf5db3d7, v157
	v_fmac_f32_e32 v172, 0x3f5db3d7, v158
	;; [unrolled: 1-line block ×3, first 2 shown]
	v_add_f32_e32 v144, v144, v204
	v_fmac_f32_e32 v192, -0.5, v177
	v_add_f32_e32 v177, v215, v211
	v_add_f32_e32 v158, v149, v169
	;; [unrolled: 1-line block ×3, first 2 shown]
	v_fmac_f32_e32 v189, -0.5, v177
	v_sub_f32_e32 v177, v215, v211
	v_fmamk_f32 v194, v191, 0x3f5db3d7, v189
	v_fmamk_f32 v193, v177, 0xbf5db3d7, v192
	v_fmac_f32_e32 v189, 0xbf5db3d7, v191
	v_fmac_f32_e32 v192, 0x3f5db3d7, v177
	v_add_f32_e32 v177, v144, v208
	v_mul_f32_e32 v203, 0xbf5db3d7, v194
	v_mul_f32_e32 v200, 0x3f5db3d7, v193
	v_mul_f32_e32 v174, -0.5, v189
	v_mul_f32_e32 v175, -0.5, v192
	v_add_f32_e32 v144, v145, v202
	v_fmac_f32_e32 v203, 0.5, v193
	v_add_f32_e32 v193, v202, v207
	v_fmac_f32_e32 v174, 0x3f5db3d7, v192
	v_fmac_f32_e32 v175, 0xbf5db3d7, v189
	v_fmac_f32_e32 v200, 0.5, v194
	v_add_f32_e32 v194, v219, v178
	v_fma_f32 v217, -0.5, v193, v145
	v_add_f32_e32 v191, v176, v174
	v_add_f32_e32 v193, v218, v179
	v_add_f32_e32 v189, v183, v212
	v_add_f32_e32 v215, v222, v200
	v_fmamk_f32 v223, v221, 0xbf5db3d7, v217
	v_fmac_f32_e32 v217, 0x3f5db3d7, v221
	v_add_nc_u32_e32 v183, 0x2c00, v242
	v_add_f32_e32 v216, v223, v203
	v_add_f32_e32 v192, v217, v175
	ds_write2_b64 v240, v[193:194], v[215:216] offset0:164 offset1:224
	ds_write2_b64 v231, v[157:158], v[191:192] offset0:12 offset1:72
	v_sub_f32_e32 v157, v218, v179
	v_sub_f32_e32 v158, v219, v178
	v_add_f32_e32 v178, v144, v207
	v_add_f32_e32 v179, v198, v211
	v_sub_f32_e32 v191, v222, v200
	v_sub_f32_e32 v192, v223, v203
	;; [unrolled: 1-line block ×5, first 2 shown]
	ds_write_b64 v242, v[144:145] offset:9600
	v_sub_f32_e32 v145, v149, v169
	v_sub_f32_e32 v144, v148, v172
	;; [unrolled: 1-line block ×4, first 2 shown]
	ds_write2_b64 v183, v[157:158], v[191:192] offset0:92 offset1:152
	v_sub_f32_e32 v174, v161, v167
	v_sub_f32_e32 v176, v213, v209
	v_add_f32_e32 v175, v188, v213
	ds_write2_b64 v241, v[144:145], v[148:149] offset0:68 offset1:128
	v_add_f32_e32 v148, v146, v161
	v_add_f32_e32 v144, v177, v179
	;; [unrolled: 1-line block ×3, first 2 shown]
	v_sub_f32_e32 v177, v214, v210
	v_add_f32_e32 v157, v148, v167
	v_add_f32_e32 v148, v147, v162
	;; [unrolled: 1-line block ×9, first 2 shown]
	ds_write2_b64 v242, v[144:145], v[148:149] offset0:120 offset1:180
	v_add_f32_e32 v144, v162, v168
	v_fmac_f32_e32 v147, -0.5, v144
	v_add_f32_e32 v144, v164, v186
	v_sub_f32_e32 v164, v164, v186
	v_sub_f32_e32 v186, v197, v205
	v_fmamk_f32 v189, v174, 0xbf5db3d7, v147
	v_fmac_f32_e32 v154, -0.5, v144
	v_add_f32_e32 v144, v165, v187
	v_sub_f32_e32 v165, v165, v187
	v_fmac_f32_e32 v147, 0x3f5db3d7, v174
	v_fmac_f32_e32 v155, -0.5, v144
	v_fmamk_f32 v148, v165, 0x3f5db3d7, v154
	v_add_f32_e32 v144, v161, v167
	v_sub_f32_e32 v161, v162, v168
	v_add_f32_e32 v168, v190, v214
	v_fmamk_f32 v145, v164, 0xbf5db3d7, v155
	v_mul_f32_e32 v167, 0xbf5db3d7, v148
	v_fma_f32 v146, -0.5, v144, v146
	v_fmac_f32_e32 v155, 0x3f5db3d7, v164
	v_fmac_f32_e32 v154, 0xbf5db3d7, v165
	v_mul_f32_e32 v162, 0x3f5db3d7, v145
	v_fmac_f32_e32 v167, 0.5, v145
	v_add_f32_e32 v145, v214, v210
	v_fmamk_f32 v187, v161, 0x3f5db3d7, v146
	v_fmac_f32_e32 v146, 0xbf5db3d7, v161
	v_fmac_f32_e32 v162, 0.5, v148
	v_mul_f32_e32 v161, -0.5, v155
	v_fmac_f32_e32 v190, -0.5, v145
	v_add_f32_e32 v145, v213, v209
	v_add_f32_e32 v144, v187, v162
	v_fmac_f32_e32 v161, 0xbf5db3d7, v154
	v_mul_f32_e32 v154, -0.5, v154
	v_fmac_f32_e32 v188, -0.5, v145
	v_fmamk_f32 v145, v176, 0xbf5db3d7, v190
	v_fmac_f32_e32 v190, 0x3f5db3d7, v176
	v_fmac_f32_e32 v154, 0x3f5db3d7, v155
	v_fmamk_f32 v148, v177, 0x3f5db3d7, v188
	v_mul_f32_e32 v178, 0x3f5db3d7, v145
	v_fmac_f32_e32 v188, 0xbf5db3d7, v177
	v_mul_f32_e32 v164, -0.5, v190
	v_mul_f32_e32 v179, 0xbf5db3d7, v148
	v_fmac_f32_e32 v178, 0.5, v148
	v_add_f32_e32 v148, v199, v206
	v_mul_f32_e32 v155, -0.5, v188
	v_fmac_f32_e32 v164, 0xbf5db3d7, v188
	v_fmac_f32_e32 v179, 0.5, v145
	v_add_f32_e32 v145, v189, v167
	s_waitcnt lgkmcnt(11)
	v_fma_f32 v191, -0.5, v148, v150
	v_add_f32_e32 v148, v197, v205
	v_fmac_f32_e32 v155, 0x3f5db3d7, v190
	v_fmamk_f32 v194, v186, 0x3f5db3d7, v191
	v_fma_f32 v192, -0.5, v148, v151
	v_fmac_f32_e32 v191, 0xbf5db3d7, v186
	v_add_nc_u32_e32 v186, 0x2400, v242
	v_add_f32_e32 v148, v194, v178
	v_fmamk_f32 v198, v193, 0xbf5db3d7, v192
	v_fmac_f32_e32 v192, 0x3f5db3d7, v193
	v_add_f32_e32 v149, v198, v179
	ds_write2_b64 v180, v[144:145], v[148:149] offset0:28 offset1:88
	v_add_f32_e32 v145, v147, v161
	v_add_f32_e32 v144, v146, v154
	;; [unrolled: 1-line block ×4, first 2 shown]
	ds_write2_b64 v231, v[144:145], v[148:149] offset0:132 offset1:192
	v_add_f32_e32 v148, v150, v199
	v_sub_f32_e32 v144, v157, v169
	v_sub_f32_e32 v145, v158, v172
	v_add_f32_e32 v157, v175, v209
	v_add_f32_e32 v158, v168, v210
	;; [unrolled: 1-line block ×5, first 2 shown]
	v_sub_f32_e32 v148, v150, v157
	v_add_f32_e32 v157, v150, v157
	v_sub_f32_e32 v149, v151, v158
	v_add_f32_e32 v158, v151, v158
	v_add_f32_e32 v151, v160, v184
	ds_write2_b64 v186, v[144:145], v[148:149] offset0:108 offset1:168
	v_sub_f32_e32 v144, v187, v162
	v_sub_f32_e32 v145, v189, v167
	;; [unrolled: 1-line block ×4, first 2 shown]
	v_add_f32_e32 v151, v151, v171
	ds_write2_b64 v182, v[144:145], v[148:149] offset0:84 offset1:144
	v_sub_f32_e32 v145, v147, v161
	v_sub_f32_e32 v144, v146, v154
	;; [unrolled: 1-line block ×4, first 2 shown]
	v_add_f32_e32 v148, v185, v196
	v_sub_f32_e32 v149, v185, v196
	ds_write2_b64 v241, v[144:145], v[146:147] offset0:188 offset1:248
	v_add_f32_e32 v144, v163, v166
	v_add_f32_e32 v145, v153, v163
	v_sub_f32_e32 v146, v173, v195
	v_add_f32_e32 v147, v173, v195
	v_fmac_f32_e32 v153, -0.5, v144
	v_add_f32_e32 v144, v152, v173
	v_add_f32_e32 v145, v145, v166
	v_fma_f32 v164, -0.5, v147, v152
	v_fmamk_f32 v161, v146, 0xbf5db3d7, v153
	v_fmac_f32_e32 v153, 0x3f5db3d7, v146
	v_add_f32_e32 v146, v184, v171
	v_add_f32_e32 v144, v144, v195
	v_fmac_f32_e32 v160, -0.5, v146
	v_add_f32_e32 v146, v159, v185
	v_fmac_f32_e32 v159, -0.5, v148
	v_sub_f32_e32 v148, v184, v171
	v_lshlrev_b32_e32 v184, 3, v225
	v_fmamk_f32 v155, v149, 0xbf5db3d7, v160
	v_fmac_f32_e32 v160, 0x3f5db3d7, v149
	v_add_f32_e32 v146, v146, v196
	v_fmamk_f32 v162, v148, 0x3f5db3d7, v159
	v_fmac_f32_e32 v159, 0xbf5db3d7, v148
	v_mul_f32_e32 v148, -0.5, v160
	v_sub_f32_e32 v150, v144, v146
	v_add_f32_e32 v152, v144, v146
	v_mul_f32_e32 v146, -0.5, v159
	v_fmac_f32_e32 v148, 0xbf5db3d7, v159
	v_fmac_f32_e32 v146, 0x3f5db3d7, v160
	v_add_f32_e32 v149, v153, v148
	v_sub_f32_e32 v147, v153, v148
	v_sub_f32_e32 v148, v163, v166
	v_mul_f32_e32 v153, 0x3f5db3d7, v155
	v_fmamk_f32 v163, v148, 0x3f5db3d7, v164
	v_fmac_f32_e32 v153, 0.5, v162
	v_fmac_f32_e32 v164, 0xbf5db3d7, v148
	v_add_f32_e32 v154, v163, v153
	v_sub_f32_e32 v144, v163, v153
	v_add_f32_e32 v153, v145, v151
	v_sub_f32_e32 v151, v145, v151
	v_mul_f32_e32 v145, 0xbf5db3d7, v162
	v_add_f32_e32 v148, v164, v146
	v_sub_f32_e32 v146, v164, v146
	ds_write2_b64 v181, v[157:158], v[152:153] offset0:112 offset1:172
	v_fmac_f32_e32 v145, 0.5, v155
	v_add_f32_e32 v155, v161, v145
	v_sub_f32_e32 v145, v161, v145
	ds_write_b64 v242, v[154:155] offset:5280
	ds_write_b64 v242, v[148:149] offset:8160
	ds_write_b64 v242, v[150:151] offset:11040
	ds_write_b64 v242, v[144:145] offset:13920
	ds_write_b64 v242, v[146:147] offset:16800
	s_waitcnt lgkmcnt(0)
	s_waitcnt_vscnt null, 0x0
	s_barrier
	buffer_gl0_inv
	buffer_store_dword v225, off, s[20:23], 0 offset:176 ; 4-byte Folded Spill
	s_clause 0x2
	global_load_dwordx2 v[160:161], v184, s[2:3] offset:480
	global_load_dwordx2 v[191:192], v156, s[2:3]
	global_load_dwordx2 v[162:163], v184, s[2:3]
	ds_read2_b64 v[156:159], v242 offset1:60
	s_waitcnt vmcnt(2) lgkmcnt(0)
	v_mul_f32_e32 v194, v158, v161
	s_waitcnt vmcnt(0)
	v_mul_f32_e32 v164, v157, v163
	v_mul_f32_e32 v165, v156, v163
	v_fmac_f32_e32 v194, v159, v160
	v_fma_f32 v164, v156, v162, -v164
	v_fmac_f32_e32 v165, v157, v162
	v_mul_f32_e32 v156, v159, v161
	ds_write_b64 v242, v[164:165]
	v_add_co_u32 v164, s0, s2, v184
	v_add_co_ci_u32_e64 v165, null, s3, 0, s0
	v_fma_f32 v193, v158, v160, -v156
	v_add_co_u32 v162, s0, 0x800, v164
	v_add_co_ci_u32_e64 v163, s0, 0, v165, s0
	v_add_co_u32 v156, s0, 0x1000, v164
	v_add_co_ci_u32_e64 v157, s0, 0, v165, s0
	s_clause 0x2
	global_load_dwordx2 v[166:167], v[162:163], off offset:1408
	global_load_dwordx2 v[168:169], v[162:163], off offset:1888
	;; [unrolled: 1-line block ×3, first 2 shown]
	ds_read2_b64 v[158:161], v240 offset0:176 offset1:236
	s_waitcnt vmcnt(2) lgkmcnt(0)
	v_mul_f32_e32 v171, v159, v167
	v_mul_f32_e32 v198, v158, v167
	s_waitcnt vmcnt(1)
	v_mul_f32_e32 v203, v160, v169
	v_fma_f32 v197, v158, v166, -v171
	v_mul_f32_e32 v158, v161, v169
	v_fmac_f32_e32 v203, v161, v168
	v_fmac_f32_e32 v198, v159, v166
	v_fma_f32 v202, v160, v168, -v158
	v_add_co_u32 v160, s0, 0x1800, v164
	v_add_co_ci_u32_e64 v161, s0, 0, v165, s0
	s_clause 0x3
	global_load_dwordx2 v[158:159], v[160:161], off offset:768
	global_load_dwordx2 v[171:172], v[160:161], off offset:1248
	;; [unrolled: 1-line block ×4, first 2 shown]
	ds_read2_b64 v[166:169], v231 offset0:96 offset1:156
	s_waitcnt vmcnt(3) lgkmcnt(0)
	v_mul_f32_e32 v173, v167, v159
	v_mul_f32_e32 v209, v166, v159
	s_waitcnt vmcnt(2)
	v_mul_f32_e32 v211, v168, v172
	v_fma_f32 v208, v166, v158, -v173
	v_fmac_f32_e32 v209, v167, v158
	v_mul_f32_e32 v158, v169, v172
	v_fmac_f32_e32 v211, v169, v171
	v_fma_f32 v210, v168, v171, -v158
	v_add_co_u32 v158, s0, 0x2800, v164
	v_add_co_ci_u32_e64 v159, s0, 0, v165, s0
	v_add_co_u32 v166, s0, 0x2000, v164
	v_add_co_ci_u32_e64 v167, s0, 0, v165, s0
	s_clause 0x1
	global_load_dwordx2 v[168:169], v[158:159], off offset:128
	global_load_dwordx2 v[212:213], v[166:167], off offset:1408
	ds_read2_b64 v[187:190], v234 offset0:16 offset1:76
	s_waitcnt vmcnt(1) lgkmcnt(0)
	v_mul_f32_e32 v171, v188, v169
	v_mul_f32_e32 v215, v187, v169
	v_fma_f32 v214, v187, v168, -v171
	v_fmac_f32_e32 v215, v188, v168
	v_add_co_u32 v168, s0, 0x3800, v164
	v_add_co_ci_u32_e64 v169, s0, 0, v165, s0
	s_clause 0x2
	global_load_dwordx2 v[171:172], v[158:159], off offset:608
	global_load_dwordx2 v[216:217], v[168:169], off offset:448
	;; [unrolled: 1-line block ×3, first 2 shown]
	s_waitcnt vmcnt(2)
	v_mul_f32_e32 v173, v190, v172
	v_mul_f32_e32 v221, v189, v172
	v_fma_f32 v220, v189, v171, -v173
	v_fmac_f32_e32 v221, v190, v171
	global_load_dwordx2 v[170:171], v170, s[2:3]
	ds_read2_b64 v[187:190], v182 offset0:192 offset1:252
	s_waitcnt vmcnt(0) lgkmcnt(0)
	v_mul_f32_e32 v172, v188, v171
	v_mul_f32_e32 v223, v187, v171
	v_fma_f32 v222, v187, v170, -v172
	v_add_co_u32 v172, s0, 0x3000, v164
	v_add_co_ci_u32_e64 v173, s0, 0, v165, s0
	v_fmac_f32_e32 v223, v188, v170
	v_add_co_u32 v170, s0, 0x4000, v164
	v_add_co_ci_u32_e64 v171, s0, 0, v165, s0
	s_clause 0x5
	global_load_dwordx2 v[187:188], v[172:173], off offset:2016
	global_load_dwordx2 v[224:225], v[170:171], off offset:128
	global_load_dwordx2 v[228:229], v184, s[2:3] offset:1728
	global_load_dwordx2 v[250:251], v[162:163], off offset:160
	global_load_dwordx2 v[252:253], v[162:163], off offset:640
	global_load_dwordx2 v[184:185], v184, s[2:3] offset:960
	s_waitcnt vmcnt(5)
	v_mul_f32_e32 v174, v190, v188
	v_mul_f32_e32 v227, v189, v188
	v_fma_f32 v226, v189, v187, -v174
	v_fmac_f32_e32 v227, v190, v187
	ds_read2_b64 v[187:190], v242 offset0:120 offset1:216
	s_waitcnt vmcnt(3) lgkmcnt(0)
	v_mul_f32_e32 v174, v190, v229
	v_mul_f32_e32 v175, v189, v229
	s_waitcnt vmcnt(0)
	v_mul_f32_e32 v176, v188, v185
	v_mul_f32_e32 v229, v187, v185
	v_fma_f32 v174, v189, v228, -v174
	v_fmac_f32_e32 v175, v190, v228
	v_fma_f32 v228, v187, v184, -v176
	v_fmac_f32_e32 v229, v188, v184
	global_load_dwordx2 v[184:185], v[156:157], off offset:1088
	ds_read2_b64 v[187:190], v240 offset0:20 offset1:80
	s_waitcnt lgkmcnt(0)
	v_mul_f32_e32 v176, v188, v251
	v_mul_f32_e32 v177, v187, v251
	;; [unrolled: 1-line block ×4, first 2 shown]
	v_fma_f32 v176, v187, v250, -v176
	v_fmac_f32_e32 v177, v188, v250
	v_fma_f32 v250, v189, v252, -v178
	v_fmac_f32_e32 v251, v190, v252
	ds_read2_b64 v[187:190], v180 offset0:40 offset1:136
	s_waitcnt lgkmcnt(0)
	v_mul_f32_e32 v200, v187, v196
	v_fmac_f32_e32 v200, v188, v195
	s_waitcnt vmcnt(0)
	v_mul_f32_e32 v178, v190, v185
	v_mul_f32_e32 v253, v189, v185
	v_fma_f32 v252, v189, v184, -v178
	v_mul_f32_e32 v178, v188, v196
	v_fmac_f32_e32 v253, v190, v184
	v_add_nc_u32_e32 v184, 0x1c00, v242
	v_fma_f32 v199, v187, v195, -v178
	ds_read2_b64 v[187:190], v232 offset0:68 offset1:128
	s_waitcnt lgkmcnt(0)
	v_mul_f32_e32 v178, v188, v207
	v_mul_f32_e32 v196, v187, v207
	;; [unrolled: 1-line block ×3, first 2 shown]
	v_fma_f32 v195, v187, v206, -v178
	v_mul_f32_e32 v178, v190, v192
	v_fmac_f32_e32 v196, v188, v206
	v_fmac_f32_e32 v207, v190, v191
	v_fma_f32 v206, v189, v191, -v178
	s_clause 0x1
	global_load_dwordx2 v[191:192], v[166:167], off offset:448
	global_load_dwordx2 v[178:179], v[166:167], off offset:928
	ds_read2_b64 v[187:190], v184 offset0:88 offset1:184
	s_waitcnt vmcnt(1) lgkmcnt(0)
	v_mul_f32_e32 v185, v190, v192
	v_mul_f32_e32 v255, v189, v192
	;; [unrolled: 1-line block ×3, first 2 shown]
	v_fma_f32 v254, v189, v191, -v185
	v_mul_f32_e32 v185, v188, v205
	v_fmac_f32_e32 v255, v190, v191
	v_fmac_f32_e32 v192, v188, v204
	v_fma_f32 v191, v187, v204, -v185
	ds_read2_b64 v[187:190], v230 offset0:116 offset1:176
	s_waitcnt vmcnt(0) lgkmcnt(0)
	v_mul_f32_e32 v185, v188, v179
	v_mul_f32_e32 v205, v187, v179
	;; [unrolled: 1-line block ×3, first 2 shown]
	v_fma_f32 v204, v187, v178, -v185
	v_fmac_f32_e32 v205, v188, v178
	v_mul_f32_e32 v178, v190, v213
	v_fmac_f32_e32 v179, v190, v212
	v_fma_f32 v178, v189, v212, -v178
	global_load_dwordx2 v[212:213], v[158:159], off offset:1856
	ds_read2_b64 v[187:190], v234 offset0:136 offset1:232
	s_waitcnt vmcnt(0) lgkmcnt(0)
	v_mul_f32_e32 v185, v190, v213
	v_mul_f32_e32 v247, v189, v213
	v_mul_f32_e32 v213, v187, v219
	v_fma_f32 v246, v189, v212, -v185
	v_mul_f32_e32 v185, v188, v219
	v_fmac_f32_e32 v247, v190, v212
	v_fmac_f32_e32 v213, v188, v218
	v_fma_f32 v212, v187, v218, -v185
	s_clause 0x2
	global_load_dwordx2 v[218:219], v[172:173], off offset:288
	global_load_dwordx2 v[232:233], v[172:173], off offset:768
	;; [unrolled: 1-line block ×3, first 2 shown]
	ds_read2_b64 v[187:190], v182 offset0:36 offset1:96
	s_waitcnt vmcnt(2) lgkmcnt(0)
	v_mul_f32_e32 v185, v188, v219
	v_mul_f32_e32 v237, v187, v219
	s_waitcnt vmcnt(1)
	v_mul_f32_e32 v219, v189, v233
	v_fma_f32 v236, v187, v218, -v185
	v_mul_f32_e32 v185, v190, v233
	v_fmac_f32_e32 v237, v188, v218
	v_fmac_f32_e32 v219, v190, v232
	v_fma_f32 v218, v189, v232, -v185
	global_load_dwordx2 v[232:233], v[168:169], off offset:1216
	ds_read2_b64 v[187:190], v241 offset0:56 offset1:152
	s_waitcnt vmcnt(0) lgkmcnt(0)
	v_mul_f32_e32 v185, v190, v233
	v_mul_f32_e32 v239, v189, v233
	v_mul_f32_e32 v233, v187, v217
	v_fma_f32 v238, v189, v232, -v185
	v_mul_f32_e32 v185, v188, v217
	v_fmac_f32_e32 v239, v190, v232
	v_fmac_f32_e32 v233, v188, v216
	v_fma_f32 v232, v187, v216, -v185
	ds_read2_b64 v[187:190], v245 offset0:84 offset1:144
	ds_write2_b64 v181, v[174:175], v[176:177] offset0:88 offset1:148
	ds_write2_b64 v183, v[246:247], v[236:237] offset0:104 offset1:164
	;; [unrolled: 1-line block ×3, first 2 shown]
	v_mov_b32_e32 v203, v182
	v_add_nc_u32_e32 v174, 0x3400, v242
	ds_write2_b64 v186, v[178:179], v[214:215] offset0:48 offset1:144
	s_waitcnt lgkmcnt(4)
	v_mul_f32_e32 v185, v188, v244
	v_mul_f32_e32 v217, v187, v244
	v_fma_f32 v216, v187, v243, -v185
	v_fmac_f32_e32 v217, v188, v243
	v_mul_f32_e32 v185, v190, v225
	v_mul_f32_e32 v188, v189, v225
	v_fma_f32 v187, v189, v224, -v185
	v_fmac_f32_e32 v188, v190, v224
	ds_write2_b64 v174, v[226:227], v[232:233] offset0:124 offset1:184
	ds_write2_b64 v180, v[252:253], v[195:196] offset0:136 offset1:196
	;; [unrolled: 1-line block ×6, first 2 shown]
	ds_write2_b64 v231, v[206:207], v[208:209] offset1:96
	ds_write2_b64 v231, v[210:211], v[191:192] offset0:156 offset1:216
	ds_write2_b64 v234, v[220:221], v[212:213] offset0:76 offset1:136
	ds_write2_b64 v182, v[218:219], v[222:223] offset0:96 offset1:192
	ds_write_b64 v242, v[187:188] offset:16512
	s_and_saveexec_b32 s0, vcc_lo
	s_cbranch_execz .LBB0_9
; %bb.8:
	s_clause 0x9
	global_load_dwordx2 v[164:165], v[164:165], off offset:1440
	global_load_dwordx2 v[162:163], v[162:163], off offset:1120
	;; [unrolled: 1-line block ×10, first 2 shown]
	v_add_nc_u32_e32 v183, 0x500, v242
	ds_read2_b64 v[156:159], v183 offset0:20 offset1:236
	s_waitcnt vmcnt(9) lgkmcnt(0)
	v_mul_f32_e32 v181, v157, v165
	v_mul_f32_e32 v182, v156, v165
	s_waitcnt vmcnt(8)
	v_mul_f32_e32 v185, v159, v163
	v_mul_f32_e32 v165, v158, v163
	v_fma_f32 v181, v156, v164, -v181
	v_fmac_f32_e32 v182, v157, v164
	v_fma_f32 v164, v158, v162, -v185
	v_fmac_f32_e32 v165, v159, v162
	v_add_nc_u32_e32 v185, 0x1200, v242
	ds_write2_b64 v183, v[181:182], v[164:165] offset0:20 offset1:236
	ds_read2_b64 v[156:159], v185 offset0:36 offset1:252
	s_waitcnt vmcnt(7) lgkmcnt(0)
	v_mul_f32_e32 v163, v157, v175
	v_mul_f32_e32 v162, v156, v175
	s_waitcnt vmcnt(6)
	v_mul_f32_e32 v165, v159, v161
	v_mul_f32_e32 v164, v158, v161
	v_add_nc_u32_e32 v175, 0x3b00, v242
	v_fma_f32 v161, v156, v174, -v163
	v_fmac_f32_e32 v162, v157, v174
	v_fma_f32 v163, v158, v160, -v165
	v_fmac_f32_e32 v164, v159, v160
	v_add_nc_u32_e32 v174, 0x2e00, v242
	ds_write2_b64 v185, v[161:162], v[163:164] offset0:36 offset1:252
	ds_read2_b64 v[156:159], v230 offset0:20 offset1:236
	s_waitcnt vmcnt(5) lgkmcnt(0)
	v_mul_f32_e32 v160, v157, v177
	v_mul_f32_e32 v161, v156, v177
	s_waitcnt vmcnt(4)
	v_mul_f32_e32 v162, v159, v167
	v_mul_f32_e32 v163, v158, v167
	v_fma_f32 v160, v156, v176, -v160
	v_fmac_f32_e32 v161, v157, v176
	v_fma_f32 v162, v158, v166, -v162
	v_fmac_f32_e32 v163, v159, v166
	ds_write2_b64 v230, v[160:161], v[162:163] offset0:20 offset1:236
	ds_read2_b64 v[156:159], v174 offset0:4 offset1:220
	ds_read2_b64 v[160:163], v175 offset0:20 offset1:236
	s_waitcnt vmcnt(3) lgkmcnt(1)
	v_mul_f32_e32 v164, v157, v179
	v_mul_f32_e32 v165, v156, v179
	s_waitcnt vmcnt(2)
	v_mul_f32_e32 v166, v159, v173
	v_mul_f32_e32 v167, v158, v173
	s_waitcnt vmcnt(1) lgkmcnt(0)
	v_mul_f32_e32 v176, v161, v169
	v_mul_f32_e32 v173, v160, v169
	s_waitcnt vmcnt(0)
	v_mul_f32_e32 v177, v163, v171
	v_mul_f32_e32 v169, v162, v171
	v_fma_f32 v164, v156, v178, -v164
	v_fmac_f32_e32 v165, v157, v178
	v_fma_f32 v166, v158, v172, -v166
	v_fmac_f32_e32 v167, v159, v172
	;; [unrolled: 2-line block ×4, first 2 shown]
	ds_write2_b64 v174, v[164:165], v[166:167] offset0:4 offset1:220
	ds_write2_b64 v175, v[172:173], v[168:169] offset0:20 offset1:236
.LBB0_9:
	s_or_b32 exec_lo, exec_lo, s0
	s_waitcnt lgkmcnt(0)
	s_waitcnt_vscnt null, 0x0
	s_barrier
	buffer_gl0_inv
	ds_read2_b64 v[196:199], v242 offset1:60
	ds_read2_b64 v[156:159], v242 offset0:120 offset1:216
	ds_read2_b64 v[214:217], v240 offset0:176 offset1:236
	;; [unrolled: 1-line block ×14, first 2 shown]
	s_and_saveexec_b32 s0, vcc_lo
	s_cbranch_execz .LBB0_11
; %bb.10:
	v_add_nc_u32_e32 v0, 0x500, v242
	v_add_nc_u32_e32 v1, 0x1200, v242
	;; [unrolled: 1-line block ×5, first 2 shown]
	ds_read2_b64 v[152:155], v0 offset0:20 offset1:236
	ds_read2_b64 v[148:151], v1 offset0:36 offset1:252
	;; [unrolled: 1-line block ×5, first 2 shown]
.LBB0_11:
	s_or_b32 exec_lo, exec_lo, s0
	s_waitcnt lgkmcnt(12)
	v_add_f32_e32 v201, v196, v214
	s_waitcnt lgkmcnt(8)
	v_add_f32_e32 v200, v218, v222
	;; [unrolled: 2-line block ×3, first 2 shown]
	v_sub_f32_e32 v202, v215, v227
	v_sub_f32_e32 v203, v219, v223
	v_add_f32_e32 v201, v201, v218
	v_fma_f32 v207, -0.5, v200, v196
	v_fma_f32 v209, -0.5, v205, v196
	v_sub_f32_e32 v204, v214, v218
	v_sub_f32_e32 v200, v226, v222
	v_add_f32_e32 v196, v201, v222
	v_fmamk_f32 v208, v202, 0xbf737871, v207
	v_fmac_f32_e32 v207, 0x3f737871, v202
	v_fmamk_f32 v210, v203, 0x3f737871, v209
	v_add_f32_e32 v200, v204, v200
	v_add_f32_e32 v211, v196, v226
	;; [unrolled: 1-line block ×3, first 2 shown]
	v_fmac_f32_e32 v208, 0xbf167918, v203
	v_fmac_f32_e32 v207, 0x3f167918, v203
	;; [unrolled: 1-line block ×3, first 2 shown]
	v_add_f32_e32 v203, v197, v215
	v_fma_f32 v232, -0.5, v196, v197
	v_sub_f32_e32 v196, v214, v226
	v_sub_f32_e32 v206, v218, v214
	;; [unrolled: 1-line block ×3, first 2 shown]
	v_fmac_f32_e32 v208, 0x3e9e377a, v200
	v_fmac_f32_e32 v210, 0xbf167918, v202
	;; [unrolled: 1-line block ×4, first 2 shown]
	v_add_f32_e32 v200, v203, v219
	v_fmamk_f32 v213, v196, 0x3f737871, v232
	v_sub_f32_e32 v202, v218, v222
	v_sub_f32_e32 v203, v215, v219
	;; [unrolled: 1-line block ×3, first 2 shown]
	v_fmac_f32_e32 v232, 0xbf737871, v196
	v_add_f32_e32 v205, v215, v227
	v_add_f32_e32 v201, v206, v201
	v_add_f32_e32 v200, v200, v223
	v_fmac_f32_e32 v213, 0x3f167918, v202
	v_add_f32_e32 v203, v203, v204
	v_fmac_f32_e32 v232, 0xbf167918, v202
	v_fma_f32 v218, -0.5, v205, v197
	v_add_f32_e32 v197, v158, v182
	v_fmac_f32_e32 v210, 0x3e9e377a, v201
	v_fmac_f32_e32 v209, 0x3e9e377a, v201
	v_add_f32_e32 v222, v200, v227
	v_fmac_f32_e32 v213, 0x3e9e377a, v203
	v_fmac_f32_e32 v232, 0x3e9e377a, v203
	v_fmamk_f32 v226, v202, 0xbf737871, v218
	v_add_f32_e32 v200, v186, v190
	v_sub_f32_e32 v201, v219, v215
	v_sub_f32_e32 v203, v223, v227
	v_fmac_f32_e32 v218, 0x3f737871, v202
	v_add_f32_e32 v197, v197, v186
	v_fma_f32 v205, -0.5, v200, v158
	s_waitcnt lgkmcnt(5)
	v_sub_f32_e32 v200, v183, v195
	v_fmac_f32_e32 v226, 0x3f167918, v196
	v_add_f32_e32 v201, v201, v203
	v_fmac_f32_e32 v218, 0xbf167918, v196
	v_add_f32_e32 v196, v197, v190
	v_add_f32_e32 v202, v182, v194
	v_fmamk_f32 v197, v200, 0xbf737871, v205
	v_sub_f32_e32 v203, v187, v191
	v_fmac_f32_e32 v226, 0x3e9e377a, v201
	v_fmac_f32_e32 v218, 0x3e9e377a, v201
	v_add_f32_e32 v206, v196, v194
	v_fma_f32 v158, -0.5, v202, v158
	v_sub_f32_e32 v196, v182, v186
	v_sub_f32_e32 v201, v194, v190
	v_fmac_f32_e32 v205, 0x3f737871, v200
	v_sub_f32_e32 v202, v186, v182
	v_sub_f32_e32 v204, v190, v194
	v_fmac_f32_e32 v197, 0xbf167918, v203
	v_fmamk_f32 v212, v203, 0x3f737871, v158
	v_add_f32_e32 v196, v196, v201
	v_fmac_f32_e32 v205, 0x3f167918, v203
	v_fmac_f32_e32 v158, 0xbf737871, v203
	v_add_f32_e32 v201, v202, v204
	v_add_f32_e32 v202, v187, v191
	v_fmac_f32_e32 v212, 0xbf167918, v200
	v_fmac_f32_e32 v197, 0x3e9e377a, v196
	;; [unrolled: 1-line block ×4, first 2 shown]
	v_add_f32_e32 v196, v183, v195
	v_fma_f32 v203, -0.5, v202, v159
	v_sub_f32_e32 v182, v182, v194
	v_fmac_f32_e32 v212, 0x3e9e377a, v201
	v_fmac_f32_e32 v158, 0x3e9e377a, v201
	v_sub_f32_e32 v186, v186, v190
	v_fma_f32 v190, -0.5, v196, v159
	v_fmamk_f32 v201, v182, 0x3f737871, v203
	v_sub_f32_e32 v194, v183, v187
	v_sub_f32_e32 v196, v195, v191
	v_add_f32_e32 v159, v159, v183
	v_fmamk_f32 v204, v186, 0xbf737871, v190
	v_sub_f32_e32 v183, v187, v183
	v_sub_f32_e32 v200, v191, v195
	v_fmac_f32_e32 v190, 0x3f737871, v186
	v_fmac_f32_e32 v201, 0x3f167918, v186
	v_add_f32_e32 v194, v194, v196
	v_fmac_f32_e32 v203, 0xbf737871, v182
	v_add_f32_e32 v183, v183, v200
	v_fmac_f32_e32 v190, 0xbf167918, v182
	v_fmac_f32_e32 v204, 0x3f167918, v182
	;; [unrolled: 1-line block ×4, first 2 shown]
	v_add_f32_e32 v159, v159, v187
	v_fmac_f32_e32 v190, 0x3e9e377a, v183
	v_fmac_f32_e32 v204, 0x3e9e377a, v183
	v_mul_f32_e32 v182, 0xbf167918, v201
	v_fmac_f32_e32 v203, 0x3e9e377a, v194
	v_add_f32_e32 v159, v159, v191
	v_mul_f32_e32 v186, 0xbf737871, v190
	v_mul_f32_e32 v190, 0xbe9e377a, v190
	v_fmac_f32_e32 v182, 0x3f4f1bbd, v197
	v_mul_f32_e32 v187, 0xbf167918, v203
	v_mul_f32_e32 v183, 0xbf737871, v204
	v_add_f32_e32 v159, v159, v195
	v_fmac_f32_e32 v186, 0xbe9e377a, v158
	v_add_f32_e32 v202, v208, v182
	v_fmac_f32_e32 v187, 0xbf4f1bbd, v205
	v_mul_f32_e32 v191, 0x3f167918, v197
	v_mul_f32_e32 v215, 0x3e9e377a, v204
	v_fmac_f32_e32 v190, 0x3f737871, v158
	v_sub_f32_e32 v208, v208, v182
	v_add_f32_e32 v158, v198, v216
	v_add_f32_e32 v182, v220, v224
	v_fmac_f32_e32 v183, 0x3e9e377a, v212
	v_add_f32_e32 v196, v209, v186
	v_mul_f32_e32 v219, 0xbf4f1bbd, v203
	v_add_f32_e32 v204, v207, v187
	v_fmac_f32_e32 v191, 0x3f4f1bbd, v201
	v_fmac_f32_e32 v215, 0x3f737871, v212
	v_add_f32_e32 v201, v222, v159
	v_sub_f32_e32 v212, v209, v186
	v_sub_f32_e32 v214, v207, v187
	;; [unrolled: 1-line block ×3, first 2 shown]
	v_add_f32_e32 v158, v158, v220
	v_fma_f32 v182, -0.5, v182, v198
	v_sub_f32_e32 v159, v217, v229
	v_add_f32_e32 v186, v216, v228
	v_add_f32_e32 v194, v210, v183
	v_fmac_f32_e32 v219, 0x3f167918, v205
	v_add_f32_e32 v203, v213, v191
	v_add_f32_e32 v197, v218, v190
	v_sub_f32_e32 v210, v210, v183
	v_sub_f32_e32 v209, v213, v191
	;; [unrolled: 1-line block ×3, first 2 shown]
	v_add_f32_e32 v158, v158, v224
	v_fmamk_f32 v183, v159, 0xbf737871, v182
	v_sub_f32_e32 v187, v221, v225
	v_sub_f32_e32 v190, v216, v220
	;; [unrolled: 1-line block ×3, first 2 shown]
	v_fma_f32 v186, -0.5, v186, v198
	v_fmac_f32_e32 v182, 0x3f737871, v159
	v_add_f32_e32 v200, v211, v206
	v_add_f32_e32 v195, v226, v215
	;; [unrolled: 1-line block ×3, first 2 shown]
	v_sub_f32_e32 v206, v211, v206
	v_sub_f32_e32 v211, v226, v215
	;; [unrolled: 1-line block ×3, first 2 shown]
	v_add_f32_e32 v198, v158, v228
	v_fmac_f32_e32 v183, 0xbf167918, v187
	v_add_f32_e32 v158, v190, v191
	v_fmamk_f32 v190, v187, 0x3f737871, v186
	v_fmac_f32_e32 v182, 0x3f167918, v187
	v_add_f32_e32 v219, v221, v225
	v_fmac_f32_e32 v186, 0xbf737871, v187
	v_add_f32_e32 v187, v199, v217
	v_sub_f32_e32 v191, v220, v216
	v_sub_f32_e32 v218, v224, v228
	v_fmac_f32_e32 v183, 0x3e9e377a, v158
	v_fma_f32 v232, -0.5, v219, v199
	v_sub_f32_e32 v216, v216, v228
	v_fmac_f32_e32 v182, 0x3e9e377a, v158
	v_add_f32_e32 v158, v187, v221
	v_fmac_f32_e32 v190, 0xbf167918, v159
	v_add_f32_e32 v191, v191, v218
	v_fmac_f32_e32 v186, 0x3f167918, v159
	v_fmamk_f32 v187, v216, 0x3f737871, v232
	v_sub_f32_e32 v159, v220, v224
	v_sub_f32_e32 v218, v217, v221
	;; [unrolled: 1-line block ×3, first 2 shown]
	v_fmac_f32_e32 v232, 0xbf737871, v216
	v_add_f32_e32 v220, v217, v229
	v_add_f32_e32 v158, v158, v225
	v_fmac_f32_e32 v190, 0x3e9e377a, v191
	v_fmac_f32_e32 v187, 0x3f167918, v159
	v_add_f32_e32 v218, v218, v219
	v_fmac_f32_e32 v232, 0xbf167918, v159
	v_fmac_f32_e32 v199, -0.5, v220
	v_fmac_f32_e32 v186, 0x3e9e377a, v191
	v_add_f32_e32 v191, v158, v229
	s_waitcnt lgkmcnt(3)
	v_add_f32_e32 v158, v160, v176
	v_fmac_f32_e32 v187, 0x3e9e377a, v218
	v_fmac_f32_e32 v232, 0x3e9e377a, v218
	v_fmamk_f32 v227, v159, 0xbf737871, v199
	s_waitcnt lgkmcnt(1)
	v_add_f32_e32 v218, v172, v168
	v_sub_f32_e32 v217, v221, v217
	v_sub_f32_e32 v219, v225, v229
	v_fmac_f32_e32 v199, 0x3f737871, v159
	v_add_f32_e32 v158, v158, v172
	v_fma_f32 v159, -0.5, v218, v160
	s_waitcnt lgkmcnt(0)
	v_sub_f32_e32 v218, v177, v165
	v_fmac_f32_e32 v227, 0x3f167918, v216
	v_add_f32_e32 v217, v217, v219
	v_fmac_f32_e32 v199, 0xbf167918, v216
	v_add_f32_e32 v158, v158, v168
	v_add_f32_e32 v216, v176, v164
	v_fmamk_f32 v219, v218, 0xbf737871, v159
	v_sub_f32_e32 v220, v173, v169
	v_fmac_f32_e32 v227, 0x3e9e377a, v217
	v_fmac_f32_e32 v199, 0x3e9e377a, v217
	v_add_f32_e32 v222, v158, v164
	v_fma_f32 v217, -0.5, v216, v160
	v_sub_f32_e32 v158, v176, v172
	v_sub_f32_e32 v160, v164, v168
	v_fmac_f32_e32 v159, 0x3f737871, v218
	v_fmac_f32_e32 v219, 0xbf167918, v220
	v_fmamk_f32 v221, v220, 0x3f737871, v217
	v_sub_f32_e32 v216, v172, v176
	v_sub_f32_e32 v223, v168, v164
	v_add_f32_e32 v158, v158, v160
	v_fmac_f32_e32 v159, 0x3f167918, v220
	v_fmac_f32_e32 v217, 0xbf737871, v220
	;; [unrolled: 1-line block ×3, first 2 shown]
	v_add_f32_e32 v160, v216, v223
	v_fmac_f32_e32 v219, 0x3e9e377a, v158
	v_add_f32_e32 v216, v173, v169
	v_fmac_f32_e32 v159, 0x3e9e377a, v158
	v_fmac_f32_e32 v217, 0x3f167918, v218
	v_add_f32_e32 v158, v177, v165
	v_fmac_f32_e32 v221, 0x3e9e377a, v160
	v_fma_f32 v220, -0.5, v216, v161
	v_sub_f32_e32 v164, v176, v164
	v_fmac_f32_e32 v217, 0x3e9e377a, v160
	v_sub_f32_e32 v160, v172, v168
	v_fma_f32 v168, -0.5, v158, v161
	v_add_f32_e32 v158, v161, v177
	v_fmamk_f32 v161, v164, 0x3f737871, v220
	v_sub_f32_e32 v172, v177, v173
	v_sub_f32_e32 v176, v165, v169
	v_fmamk_f32 v223, v160, 0xbf737871, v168
	v_sub_f32_e32 v177, v173, v177
	v_sub_f32_e32 v216, v169, v165
	v_fmac_f32_e32 v168, 0x3f737871, v160
	v_fmac_f32_e32 v161, 0x3f167918, v160
	v_add_f32_e32 v172, v172, v176
	v_fmac_f32_e32 v223, 0x3f167918, v164
	v_add_f32_e32 v176, v177, v216
	v_fmac_f32_e32 v220, 0xbf737871, v164
	v_fmac_f32_e32 v168, 0xbf167918, v164
	v_add_f32_e32 v158, v158, v173
	v_fmac_f32_e32 v161, 0x3e9e377a, v172
	v_fmac_f32_e32 v223, 0x3e9e377a, v176
	v_fmac_f32_e32 v220, 0xbf167918, v160
	v_fmac_f32_e32 v168, 0x3e9e377a, v176
	v_add_f32_e32 v158, v158, v169
	v_mul_f32_e32 v164, 0xbf167918, v161
	v_mul_f32_e32 v169, 0xbf737871, v223
	v_fmac_f32_e32 v220, 0x3e9e377a, v172
	v_mul_f32_e32 v173, 0xbf737871, v168
	v_add_f32_e32 v165, v158, v165
	v_fmac_f32_e32 v164, 0x3f4f1bbd, v219
	v_fmac_f32_e32 v169, 0x3e9e377a, v221
	v_mul_f32_e32 v172, 0xbf167918, v220
	v_fmac_f32_e32 v173, 0xbe9e377a, v217
	v_mul_f32_e32 v176, 0x3f167918, v219
	v_add_f32_e32 v160, v183, v164
	v_add_f32_e32 v216, v190, v169
	v_fmac_f32_e32 v172, 0xbf4f1bbd, v159
	v_mul_f32_e32 v177, 0x3e9e377a, v223
	v_mul_f32_e32 v228, 0xbf4f1bbd, v220
	v_sub_f32_e32 v224, v183, v164
	v_add_f32_e32 v164, v184, v188
	v_sub_f32_e32 v226, v190, v169
	v_add_f32_e32 v169, v156, v180
	v_add_f32_e32 v218, v186, v173
	v_mul_f32_e32 v168, 0xbe9e377a, v168
	v_add_f32_e32 v220, v182, v172
	v_fmac_f32_e32 v176, 0x3f4f1bbd, v161
	v_fmac_f32_e32 v177, 0x3f737871, v221
	;; [unrolled: 1-line block ×3, first 2 shown]
	v_add_f32_e32 v159, v191, v165
	v_sub_f32_e32 v250, v186, v173
	v_sub_f32_e32 v252, v182, v172
	v_fma_f32 v173, -0.5, v164, v156
	v_sub_f32_e32 v164, v181, v193
	v_sub_f32_e32 v223, v191, v165
	v_add_f32_e32 v165, v169, v184
	v_add_f32_e32 v182, v180, v192
	v_fmac_f32_e32 v168, 0x3f737871, v217
	v_add_f32_e32 v161, v187, v176
	v_add_f32_e32 v217, v227, v177
	v_sub_f32_e32 v225, v187, v176
	v_sub_f32_e32 v227, v227, v177
	v_fmamk_f32 v176, v164, 0xbf737871, v173
	v_sub_f32_e32 v169, v185, v189
	v_sub_f32_e32 v172, v180, v184
	;; [unrolled: 1-line block ×3, first 2 shown]
	v_add_f32_e32 v165, v165, v188
	v_fma_f32 v156, -0.5, v182, v156
	v_fmac_f32_e32 v173, 0x3f737871, v164
	v_add_f32_e32 v219, v199, v168
	v_sub_f32_e32 v251, v199, v168
	v_fmac_f32_e32 v176, 0xbf167918, v169
	v_add_f32_e32 v168, v172, v177
	v_add_f32_e32 v172, v165, v192
	v_fmamk_f32 v177, v169, 0x3f737871, v156
	v_sub_f32_e32 v165, v184, v180
	v_sub_f32_e32 v182, v188, v192
	v_fmac_f32_e32 v173, 0x3f167918, v169
	v_add_f32_e32 v183, v157, v181
	v_add_f32_e32 v186, v185, v189
	v_fmac_f32_e32 v156, 0xbf737871, v169
	v_fmac_f32_e32 v176, 0x3e9e377a, v168
	;; [unrolled: 1-line block ×3, first 2 shown]
	v_add_f32_e32 v165, v165, v182
	v_add_f32_e32 v169, v183, v185
	v_fma_f32 v182, -0.5, v186, v157
	v_sub_f32_e32 v180, v180, v192
	v_fmac_f32_e32 v173, 0x3e9e377a, v168
	v_fmac_f32_e32 v156, 0x3f167918, v164
	v_add_f32_e32 v168, v181, v193
	v_fmac_f32_e32 v177, 0x3e9e377a, v165
	v_add_f32_e32 v164, v169, v189
	v_fmamk_f32 v183, v180, 0x3f737871, v182
	v_sub_f32_e32 v169, v184, v188
	v_sub_f32_e32 v184, v181, v185
	;; [unrolled: 1-line block ×3, first 2 shown]
	v_fmac_f32_e32 v156, 0x3e9e377a, v165
	v_fmac_f32_e32 v157, -0.5, v168
	v_fmac_f32_e32 v182, 0xbf737871, v180
	v_sub_f32_e32 v165, v185, v181
	v_sub_f32_e32 v168, v189, v193
	v_add_f32_e32 v181, v162, v178
	v_add_f32_e32 v187, v164, v193
	v_fmac_f32_e32 v183, 0x3f167918, v169
	v_add_f32_e32 v164, v184, v186
	v_fmamk_f32 v184, v169, 0xbf737871, v157
	v_fmac_f32_e32 v182, 0xbf167918, v169
	v_add_f32_e32 v165, v165, v168
	v_fmac_f32_e32 v157, 0x3f737871, v169
	v_add_f32_e32 v168, v181, v174
	v_add_f32_e32 v169, v174, v170
	v_fmac_f32_e32 v183, 0x3e9e377a, v164
	v_fmac_f32_e32 v184, 0x3f167918, v180
	;; [unrolled: 1-line block ×4, first 2 shown]
	v_add_f32_e32 v164, v168, v170
	v_fma_f32 v169, -0.5, v169, v162
	v_add_f32_e32 v168, v178, v166
	v_sub_f32_e32 v180, v179, v167
	v_fmac_f32_e32 v184, 0x3e9e377a, v165
	v_fmac_f32_e32 v157, 0x3e9e377a, v165
	v_add_f32_e32 v181, v164, v166
	v_sub_f32_e32 v164, v175, v171
	v_fma_f32 v165, -0.5, v168, v162
	v_fmamk_f32 v185, v180, 0xbf737871, v169
	v_sub_f32_e32 v162, v178, v174
	v_sub_f32_e32 v168, v166, v170
	v_fmac_f32_e32 v169, 0x3f737871, v180
	v_fmamk_f32 v186, v164, 0x3f737871, v165
	v_fmac_f32_e32 v185, 0xbf167918, v164
	v_sub_f32_e32 v188, v174, v178
	v_add_f32_e32 v162, v162, v168
	v_fmac_f32_e32 v169, 0x3f167918, v164
	v_sub_f32_e32 v189, v170, v166
	v_fmac_f32_e32 v165, 0xbf737871, v164
	v_add_f32_e32 v164, v175, v171
	v_fmac_f32_e32 v185, 0x3e9e377a, v162
	v_fmac_f32_e32 v169, 0x3e9e377a, v162
	v_add_f32_e32 v162, v179, v167
	v_fmac_f32_e32 v186, 0xbf167918, v180
	v_add_f32_e32 v168, v188, v189
	v_fmac_f32_e32 v165, 0x3f167918, v180
	v_fma_f32 v180, -0.5, v164, v163
	v_sub_f32_e32 v164, v178, v166
	v_add_f32_e32 v166, v163, v179
	v_sub_f32_e32 v170, v174, v170
	v_fmac_f32_e32 v163, -0.5, v162
	v_fmac_f32_e32 v186, 0x3e9e377a, v168
	v_fmac_f32_e32 v165, 0x3e9e377a, v168
	v_sub_f32_e32 v162, v179, v175
	v_sub_f32_e32 v168, v167, v171
	v_fmamk_f32 v178, v170, 0xbf737871, v163
	v_sub_f32_e32 v179, v175, v179
	v_sub_f32_e32 v188, v171, v167
	v_fmac_f32_e32 v163, 0x3f737871, v170
	v_add_f32_e32 v162, v162, v168
	v_fmac_f32_e32 v178, 0x3f167918, v164
	v_add_f32_e32 v168, v179, v188
	v_fmac_f32_e32 v163, 0xbf167918, v164
	s_barrier
	buffer_gl0_inv
	v_add_f32_e32 v158, v198, v222
	v_fmac_f32_e32 v178, 0x3e9e377a, v168
	v_fmac_f32_e32 v163, 0x3e9e377a, v168
	v_add_f32_e32 v221, v232, v228
	v_sub_f32_e32 v222, v198, v222
	v_sub_f32_e32 v253, v232, v228
	v_mul_f32_e32 v179, 0xbf737871, v178
	v_mul_f32_e32 v188, 0xbf737871, v163
	;; [unrolled: 1-line block ×3, first 2 shown]
	v_fmamk_f32 v174, v164, 0x3f737871, v180
	v_fmac_f32_e32 v180, 0xbf737871, v164
	v_add_f32_e32 v164, v166, v175
	v_fmac_f32_e32 v188, 0xbe9e377a, v165
	v_mul_f32_e32 v192, 0xbe9e377a, v163
	v_fmac_f32_e32 v174, 0x3f167918, v170
	v_fmac_f32_e32 v180, 0xbf167918, v170
	v_add_f32_e32 v164, v164, v171
	v_add_f32_e32 v168, v156, v188
	v_sub_f32_e32 v178, v156, v188
	buffer_load_dword v156, off, s[20:23], 0 offset:332 ; 4-byte Folded Reload
	v_fmac_f32_e32 v174, 0x3e9e377a, v162
	v_fmac_f32_e32 v180, 0x3e9e377a, v162
	v_add_f32_e32 v189, v164, v167
	v_fmac_f32_e32 v179, 0x3e9e377a, v186
	v_fmac_f32_e32 v191, 0x3f737871, v186
	v_mul_f32_e32 v175, 0xbf167918, v174
	v_mul_f32_e32 v190, 0xbf167918, v180
	;; [unrolled: 1-line block ×3, first 2 shown]
	v_fmac_f32_e32 v192, 0x3f737871, v165
	v_add_f32_e32 v162, v172, v181
	v_fmac_f32_e32 v175, 0x3f4f1bbd, v185
	v_mul_f32_e32 v185, 0x3f167918, v185
	v_fmac_f32_e32 v190, 0xbf4f1bbd, v169
	v_fmac_f32_e32 v193, 0x3f167918, v169
	v_add_f32_e32 v163, v187, v189
	v_add_f32_e32 v164, v176, v175
	v_fmac_f32_e32 v185, 0x3f4f1bbd, v174
	v_add_f32_e32 v166, v177, v179
	v_add_f32_e32 v167, v184, v191
	;; [unrolled: 1-line block ×6, first 2 shown]
	v_sub_f32_e32 v172, v172, v181
	v_sub_f32_e32 v180, v173, v190
	;; [unrolled: 1-line block ×9, first 2 shown]
	s_waitcnt vmcnt(0)
	ds_write_b128 v156, v[200:203]
	ds_write_b128 v156, v[194:197] offset:16
	ds_write_b128 v156, v[204:207] offset:32
	;; [unrolled: 1-line block ×4, first 2 shown]
	buffer_load_dword v156, off, s[20:23], 0 offset:336 ; 4-byte Folded Reload
	s_waitcnt vmcnt(0)
	ds_write_b128 v156, v[158:161]
	ds_write_b128 v156, v[216:219] offset:16
	ds_write_b128 v156, v[220:223] offset:32
	;; [unrolled: 1-line block ×4, first 2 shown]
	buffer_load_dword v156, off, s[20:23], 0 offset:340 ; 4-byte Folded Reload
	s_waitcnt vmcnt(0)
	ds_write_b128 v156, v[162:165]
	ds_write_b128 v156, v[166:169] offset:16
	ds_write_b128 v156, v[170:173] offset:32
	;; [unrolled: 1-line block ×4, first 2 shown]
	s_mov_b32 s0, exec_lo
	buffer_load_dword v184, off, s[20:23], 0 offset:176 ; 4-byte Folded Reload
	s_and_b32 s1, s0, vcc_lo
	s_mov_b32 exec_lo, s1
	s_cbranch_execz .LBB0_13
; %bb.12:
	v_sub_f32_e32 v157, v149, v145
	v_sub_f32_e32 v158, v1, v5
	v_add_f32_e32 v156, v145, v5
	v_add_f32_e32 v160, v146, v6
	v_sub_f32_e32 v165, v151, v147
	v_add_f32_e32 v175, v151, v3
	v_add_f32_e32 v157, v157, v158
	;; [unrolled: 1-line block ×3, first 2 shown]
	v_fma_f32 v163, -0.5, v156, v153
	v_fma_f32 v164, -0.5, v160, v154
	v_sub_f32_e32 v160, v151, v3
	v_sub_f32_e32 v178, v147, v151
	v_fma_f32 v176, -0.5, v158, v153
	v_add_f32_e32 v153, v153, v149
	v_add_f32_e32 v151, v155, v151
	;; [unrolled: 1-line block ×3, first 2 shown]
	v_sub_f32_e32 v156, v148, v0
	v_sub_f32_e32 v166, v3, v7
	;; [unrolled: 1-line block ×6, first 2 shown]
	v_add_f32_e32 v153, v153, v145
	v_add_f32_e32 v147, v151, v147
	;; [unrolled: 1-line block ×3, first 2 shown]
	v_fmamk_f32 v166, v156, 0xbf737871, v163
	v_add_f32_e32 v177, v150, v2
	v_add_f32_e32 v173, v173, v174
	v_fma_f32 v174, -0.5, v175, v155
	v_fmamk_f32 v175, v172, 0x3f737871, v176
	v_sub_f32_e32 v179, v7, v3
	v_fmac_f32_e32 v176, 0xbf737871, v172
	v_fmac_f32_e32 v163, 0x3f737871, v156
	v_sub_f32_e32 v145, v145, v5
	v_add_f32_e32 v5, v153, v5
	v_add_f32_e32 v7, v147, v7
	v_add_f32_e32 v147, v148, v0
	v_fmamk_f32 v170, v160, 0x3f737871, v164
	v_fmac_f32_e32 v166, 0xbf167918, v172
	v_fma_f32 v177, -0.5, v177, v154
	v_fmac_f32_e32 v175, 0xbf167918, v156
	v_fmac_f32_e32 v164, 0xbf737871, v160
	;; [unrolled: 1-line block ×4, first 2 shown]
	v_sub_f32_e32 v149, v149, v1
	v_add_f32_e32 v153, v5, v1
	v_fma_f32 v172, -0.5, v147, v152
	v_sub_f32_e32 v1, v144, v148
	v_sub_f32_e32 v5, v4, v0
	v_fmac_f32_e32 v170, 0x3f167918, v171
	v_fmamk_f32 v183, v171, 0xbf737871, v177
	v_fmac_f32_e32 v175, 0x3e9e377a, v173
	v_fmac_f32_e32 v177, 0x3f737871, v171
	;; [unrolled: 1-line block ×4, first 2 shown]
	v_add_f32_e32 v171, v7, v3
	v_fmamk_f32 v173, v145, 0xbf737871, v172
	v_add_f32_e32 v1, v1, v5
	v_fmac_f32_e32 v172, 0x3f737871, v145
	v_add_f32_e32 v5, v152, v148
	v_add_f32_e32 v7, v154, v150
	v_fmac_f32_e32 v173, 0x3f167918, v149
	v_fmac_f32_e32 v166, 0x3e9e377a, v157
	;; [unrolled: 1-line block ×3, first 2 shown]
	v_add_f32_e32 v5, v5, v144
	v_add_f32_e32 v7, v7, v146
	v_fmac_f32_e32 v183, 0x3f167918, v160
	v_fmac_f32_e32 v177, 0xbf167918, v160
	v_add_f32_e32 v160, v144, v4
	v_fmac_f32_e32 v163, 0x3e9e377a, v157
	v_sub_f32_e32 v157, v0, v4
	v_fmac_f32_e32 v173, 0x3e9e377a, v1
	v_fmac_f32_e32 v172, 0x3e9e377a, v1
	v_add_f32_e32 v1, v5, v4
	v_add_f32_e32 v4, v7, v6
	v_sub_f32_e32 v162, v150, v2
	v_sub_f32_e32 v169, v2, v6
	;; [unrolled: 1-line block ×3, first 2 shown]
	v_add_f32_e32 v0, v1, v0
	v_add_f32_e32 v4, v4, v2
	v_sub_f32_e32 v151, v148, v144
	v_fma_f32 v159, -0.5, v159, v155
	v_sub_f32_e32 v168, v146, v6
	v_sub_f32_e32 v161, v150, v146
	;; [unrolled: 1-line block ×3, first 2 shown]
	v_add_f32_e32 v144, v0, v4
	buffer_load_dword v0, off, s[20:23], 0 offset:512 ; 4-byte Folded Reload
	v_fmamk_f32 v167, v162, 0xbf737871, v159
	v_fmac_f32_e32 v159, 0x3f737871, v162
	v_fmamk_f32 v180, v168, 0x3f737871, v174
	v_fmac_f32_e32 v174, 0xbf737871, v168
	v_add_f32_e32 v161, v161, v169
	v_fmac_f32_e32 v167, 0xbf167918, v168
	v_fmac_f32_e32 v159, 0x3f167918, v168
	v_fma_f32 v155, -0.5, v160, v152
	v_sub_f32_e32 v181, v146, v150
	v_add_f32_e32 v178, v178, v179
	v_fmac_f32_e32 v180, 0xbf167918, v162
	v_fmac_f32_e32 v174, 0x3f167918, v162
	;; [unrolled: 1-line block ×5, first 2 shown]
	v_fmamk_f32 v165, v149, 0x3f737871, v155
	v_fmac_f32_e32 v155, 0xbf737871, v149
	v_add_f32_e32 v179, v181, v182
	v_fmac_f32_e32 v180, 0x3e9e377a, v178
	v_fmac_f32_e32 v174, 0x3e9e377a, v178
	v_mul_f32_e32 v168, 0x3f167918, v164
	v_add_f32_e32 v151, v151, v157
	v_fmac_f32_e32 v155, 0xbf167918, v145
	v_mul_f32_e32 v149, 0xbf167918, v159
	v_fmac_f32_e32 v183, 0x3e9e377a, v179
	v_mul_f32_e32 v181, 0xbe9e377a, v180
	;; [unrolled: 2-line block ×3, first 2 shown]
	v_mul_f32_e32 v148, 0xbf737871, v180
	v_mul_f32_e32 v150, 0xbf737871, v174
	v_fmac_f32_e32 v170, 0x3e9e377a, v161
	v_mul_f32_e32 v169, 0xbf4f1bbd, v167
	v_fmac_f32_e32 v165, 0x3f167918, v145
	;; [unrolled: 2-line block ×3, first 2 shown]
	v_fmac_f32_e32 v155, 0x3e9e377a, v151
	v_fmac_f32_e32 v149, 0x3f4f1bbd, v164
	;; [unrolled: 1-line block ×9, first 2 shown]
	v_add_f32_e32 v147, v163, v168
	v_add_f32_e32 v145, v153, v171
	;; [unrolled: 1-line block ×7, first 2 shown]
	v_sub_f32_e32 v3, v153, v171
	v_add_f32_e32 v1, v166, v169
	v_sub_f32_e32 v162, v176, v178
	v_sub_f32_e32 v160, v163, v168
	;; [unrolled: 1-line block ×8, first 2 shown]
	s_waitcnt vmcnt(0)
	v_lshlrev_b32_e32 v151, 3, v0
	v_add_f32_e32 v0, v165, v167
	ds_write_b128 v151, v[144:147]
	ds_write_b128 v151, v[4:7] offset:16
	ds_write_b128 v151, v[0:3] offset:32
	;; [unrolled: 1-line block ×4, first 2 shown]
.LBB0_13:
	s_or_b32 exec_lo, exec_lo, s0
	v_add_nc_u32_e32 v144, 0x800, v242
	s_waitcnt vmcnt(0) lgkmcnt(0)
	s_barrier
	buffer_gl0_inv
	s_mov_b32 s2, 0xc901e574
	ds_read2_b64 v[0:3], v144 offset0:104 offset1:164
	s_mov_b32 s3, 0x3f3e573a
	s_mul_hi_u32 s1, s8, 0xd8
	s_waitcnt lgkmcnt(0)
	v_mul_f32_e32 v156, v41, v1
	v_mul_f32_e32 v154, v37, v3
	v_fmac_f32_e32 v156, v40, v0
	v_mul_f32_e32 v0, v41, v0
	v_fmac_f32_e32 v154, v36, v2
	v_fma_f32 v157, v40, v1, -v0
	v_add_nc_u32_e32 v40, 0x1400, v242
	ds_read2_b64 v[4:7], v40 offset0:80 offset1:140
	s_waitcnt lgkmcnt(0)
	v_mul_f32_e32 v0, v43, v4
	v_mul_f32_e32 v164, v43, v5
	;; [unrolled: 1-line block ×3, first 2 shown]
	v_fma_f32 v165, v42, v5, -v0
	v_mul_f32_e32 v0, v37, v2
	v_fmac_f32_e32 v164, v42, v4
	v_fmac_f32_e32 v158, v38, v6
	v_fma_f32 v155, v36, v3, -v0
	v_mul_f32_e32 v0, v39, v6
	v_add_nc_u32_e32 v36, 0x2000, v242
	v_fma_f32 v159, v38, v7, -v0
	ds_read2_b64 v[0:3], v36 offset0:56 offset1:116
	s_waitcnt lgkmcnt(0)
	v_mul_f32_e32 v166, v29, v1
	v_mul_f32_e32 v160, v25, v3
	v_fmac_f32_e32 v166, v28, v0
	v_mul_f32_e32 v0, v29, v0
	v_fmac_f32_e32 v160, v24, v2
	v_fma_f32 v167, v28, v1, -v0
	v_add_nc_u32_e32 v28, 0x2800, v242
	ds_read2_b64 v[4:7], v28 offset0:160 offset1:220
	s_waitcnt lgkmcnt(0)
	v_mul_f32_e32 v0, v31, v4
	v_mul_f32_e32 v168, v31, v5
	;; [unrolled: 1-line block ×3, first 2 shown]
	v_fma_f32 v169, v30, v5, -v0
	v_mul_f32_e32 v0, v25, v2
	v_fmac_f32_e32 v168, v30, v4
	v_fmac_f32_e32 v162, v26, v6
	v_sub_f32_e32 v172, v165, v169
	v_fma_f32 v161, v24, v3, -v0
	v_mul_f32_e32 v0, v27, v6
	v_add_nc_u32_e32 v24, 0xc00, v242
	v_fma_f32 v163, v26, v7, -v0
	ds_read2_b64 v[0:3], v24 offset0:96 offset1:156
	s_waitcnt lgkmcnt(0)
	v_mul_f32_e32 v37, v21, v1
	v_mul_f32_e32 v27, v9, v3
	v_fmac_f32_e32 v37, v20, v0
	v_mul_f32_e32 v0, v21, v0
	v_fmac_f32_e32 v27, v8, v2
	v_fma_f32 v41, v20, v1, -v0
	v_add_nc_u32_e32 v20, 0x1800, v242
	ds_read2_b64 v[4:7], v20 offset0:72 offset1:132
	s_waitcnt lgkmcnt(0)
	v_mul_f32_e32 v0, v23, v4
	v_mul_f32_e32 v148, v23, v5
	;; [unrolled: 1-line block ×3, first 2 shown]
	v_fma_f32 v149, v22, v5, -v0
	v_mul_f32_e32 v0, v9, v2
	v_fmac_f32_e32 v148, v22, v4
	v_fmac_f32_e32 v38, v10, v6
	v_fma_f32 v29, v8, v3, -v0
	v_mul_f32_e32 v0, v11, v6
	v_fma_f32 v39, v10, v7, -v0
	ds_read2_b64 v[0:3], v36 offset0:176 offset1:236
	v_add_nc_u32_e32 v10, 0x1000, v242
	s_waitcnt lgkmcnt(0)
	v_mul_f32_e32 v152, v17, v1
	v_mul_f32_e32 v42, v13, v3
	v_fmac_f32_e32 v152, v16, v0
	v_mul_f32_e32 v0, v17, v0
	v_fmac_f32_e32 v42, v12, v2
	v_fma_f32 v150, v16, v1, -v0
	v_add_nc_u32_e32 v16, 0x3000, v242
	ds_read2_b64 v[4:7], v16 offset0:24 offset1:84
	s_waitcnt lgkmcnt(0)
	v_mul_f32_e32 v0, v19, v4
	v_mul_f32_e32 v151, v19, v5
	;; [unrolled: 1-line block ×3, first 2 shown]
	v_fma_f32 v153, v18, v5, -v0
	v_mul_f32_e32 v0, v13, v2
	v_fmac_f32_e32 v151, v18, v4
	v_fmac_f32_e32 v146, v14, v6
	v_fma_f32 v145, v12, v3, -v0
	v_mul_f32_e32 v0, v15, v6
	v_add_nc_u32_e32 v12, 0x3800, v242
	v_fma_f32 v147, v14, v7, -v0
	ds_read2_b64 v[0:3], v10 offset0:88 offset1:148
	ds_read2_b64 v[4:7], v20 offset0:192 offset1:252
	v_add_nc_u32_e32 v14, 0x3c00, v242
	s_waitcnt lgkmcnt(1)
	v_mul_f32_e32 v17, v33, v1
	v_mul_f32_e32 v13, v53, v3
	s_waitcnt lgkmcnt(0)
	v_mul_f32_e32 v30, v35, v5
	v_mul_f32_e32 v18, v55, v7
	v_fmac_f32_e32 v17, v32, v0
	v_mul_f32_e32 v0, v33, v0
	v_fmac_f32_e32 v13, v52, v2
	v_fmac_f32_e32 v30, v34, v4
	;; [unrolled: 1-line block ×3, first 2 shown]
	v_fma_f32 v21, v32, v1, -v0
	v_mul_f32_e32 v0, v35, v4
	v_fma_f32 v31, v34, v5, -v0
	v_mul_f32_e32 v0, v53, v2
	v_fma_f32 v15, v52, v3, -v0
	v_mul_f32_e32 v0, v55, v6
	v_fma_f32 v19, v54, v7, -v0
	ds_read2_b64 v[0:3], v28 offset0:40 offset1:100
	ds_read2_b64 v[4:7], v16 offset0:144 offset1:204
	s_waitcnt lgkmcnt(1)
	v_mul_f32_e32 v43, v45, v1
	v_mul_f32_e32 v22, v49, v3
	s_waitcnt lgkmcnt(0)
	v_mul_f32_e32 v25, v51, v7
	v_mul_f32_e32 v35, v47, v5
	v_fmac_f32_e32 v43, v44, v0
	v_mul_f32_e32 v0, v45, v0
	v_fmac_f32_e32 v22, v48, v2
	v_fmac_f32_e32 v25, v50, v6
	;; [unrolled: 1-line block ×3, first 2 shown]
	v_fma_f32 v34, v44, v1, -v0
	v_mul_f32_e32 v0, v47, v4
	v_fma_f32 v44, v46, v5, -v0
	v_mul_f32_e32 v0, v49, v2
	;; [unrolled: 2-line block ×3, first 2 shown]
	v_fma_f32 v26, v50, v7, -v0
	ds_read2_b64 v[0:3], v12 offset0:8 offset1:68
	s_clause 0x1
	buffer_load_dword v5, off, s[20:23], 0 offset:344
	buffer_load_dword v6, off, s[20:23], 0 offset:348
	s_waitcnt vmcnt(0) lgkmcnt(0)
	v_mul_f32_e32 v4, v6, v1
	v_fmac_f32_e32 v4, v5, v0
	v_mul_f32_e32 v0, v6, v0
	s_clause 0x1
	buffer_load_dword v6, off, s[20:23], 0 offset:352
	buffer_load_dword v7, off, s[20:23], 0 offset:356
	v_add_f32_e32 v11, v166, v4
	v_fma_f32 v5, v5, v1, -v0
	s_waitcnt vmcnt(0)
	v_mul_f32_e32 v55, v7, v3
	v_mul_f32_e32 v0, v7, v2
	v_fmac_f32_e32 v55, v6, v2
	v_fma_f32 v170, v6, v3, -v0
	ds_read2_b64 v[0:3], v12 offset0:128 offset1:188
	s_clause 0x1
	buffer_load_dword v6, off, s[20:23], 0 offset:368
	buffer_load_dword v7, off, s[20:23], 0 offset:372
	s_waitcnt vmcnt(0) lgkmcnt(0)
	v_mul_f32_e32 v50, v7, v1
	v_fmac_f32_e32 v50, v6, v0
	v_mul_f32_e32 v0, v7, v0
	v_fma_f32 v49, v6, v1, -v0
	s_clause 0x1
	buffer_load_dword v6, off, s[20:23], 0 offset:360
	buffer_load_dword v7, off, s[20:23], 0 offset:364
	s_waitcnt vmcnt(0)
	v_mul_f32_e32 v47, v7, v3
	v_mul_f32_e32 v0, v7, v2
	v_fmac_f32_e32 v47, v6, v2
	v_fma_f32 v48, v6, v3, -v0
	ds_read2_b64 v[0:3], v14 offset0:120 offset1:180
	s_clause 0x1
	buffer_load_dword v6, off, s[20:23], 0 offset:376
	buffer_load_dword v7, off, s[20:23], 0 offset:380
	s_waitcnt vmcnt(0) lgkmcnt(0)
	v_mul_f32_e32 v46, v7, v1
	v_fmac_f32_e32 v46, v6, v0
	v_mul_f32_e32 v0, v7, v0
	v_fma_f32 v45, v6, v1, -v0
	s_clause 0x1
	buffer_load_dword v6, off, s[20:23], 0 offset:388
	buffer_load_dword v7, off, s[20:23], 0 offset:392
	s_waitcnt vmcnt(0)
	v_mul_f32_e32 v32, v7, v3
	v_mul_f32_e32 v0, v7, v2
	v_fmac_f32_e32 v32, v6, v2
	v_fma_f32 v33, v6, v3, -v0
	ds_read2_b64 v[6:9], v242 offset1:60
	v_add_f32_e32 v2, v167, v5
	v_add_f32_e32 v3, v157, v167
	v_sub_f32_e32 v167, v167, v5
	v_fmac_f32_e32 v157, -0.5, v2
	v_add_f32_e32 v2, v156, v166
	v_sub_f32_e32 v166, v166, v4
	v_fmac_f32_e32 v156, -0.5, v11
	v_add_nc_u32_e32 v11, 0x400, v242
	s_waitcnt lgkmcnt(0)
	v_add_f32_e32 v0, v7, v165
	v_add_f32_e32 v1, v6, v164
	;; [unrolled: 1-line block ×6, first 2 shown]
	v_sub_f32_e32 v164, v164, v168
	v_add_f32_e32 v168, v2, v4
	v_fmamk_f32 v2, v166, 0x3f5db3d7, v157
	v_add_f32_e32 v169, v3, v5
	v_fma_f32 v175, -0.5, v1, v6
	v_fma_f32 v176, -0.5, v0, v7
	v_fmac_f32_e32 v157, 0xbf5db3d7, v166
	v_mul_f32_e32 v173, 0xbf5db3d7, v2
	v_mul_f32_e32 v174, 0.5, v2
	v_fmamk_f32 v2, v167, 0xbf5db3d7, v156
	v_fmac_f32_e32 v156, 0x3f5db3d7, v167
	v_fmamk_f32 v177, v172, 0xbf5db3d7, v175
	v_fmamk_f32 v178, v164, 0x3f5db3d7, v176
	v_fmac_f32_e32 v176, 0xbf5db3d7, v164
	v_fmac_f32_e32 v173, 0.5, v2
	v_fmac_f32_e32 v174, 0x3f5db3d7, v2
	ds_read2_b64 v[4:7], v242 offset0:120 offset1:180
	ds_read2_b64 v[0:3], v11 offset0:112 offset1:172
	s_waitcnt lgkmcnt(0)
	s_barrier
	buffer_gl0_inv
	s_clause 0x1
	buffer_load_dword v179, off, s[20:23], 0 offset:408
	buffer_load_dword v167, off, s[20:23], 0 offset:384
	v_mul_f32_e32 v164, 0xbf5db3d7, v157
	v_mul_f32_e32 v157, -0.5, v157
	v_add_f32_e32 v51, v165, v168
	v_add_f32_e32 v52, v171, v169
	;; [unrolled: 1-line block ×4, first 2 shown]
	v_fmac_f32_e32 v175, 0x3f5db3d7, v172
	v_fmac_f32_e32 v164, -0.5, v156
	v_fmac_f32_e32 v157, 0x3f5db3d7, v156
	v_sub_f32_e32 v156, v159, v163
	s_waitcnt vmcnt(1)
	ds_write2_b64 v179, v[51:52], v[53:54] offset1:10
	v_sub_f32_e32 v51, v165, v168
	v_sub_f32_e32 v52, v171, v169
	v_add_f32_e32 v53, v175, v164
	v_add_f32_e32 v54, v176, v157
	ds_write2_b64 v179, v[53:54], v[51:52] offset0:20 offset1:30
	v_sub_f32_e32 v51, v177, v173
	v_sub_f32_e32 v52, v178, v174
	;; [unrolled: 1-line block ×4, first 2 shown]
	ds_write2_b64 v179, v[51:52], v[53:54] offset0:40 offset1:50
	v_add_f32_e32 v52, v159, v163
	v_add_f32_e32 v51, v9, v159
	;; [unrolled: 1-line block ×4, first 2 shown]
	v_fmac_f32_e32 v9, -0.5, v52
	v_add_f32_e32 v52, v161, v170
	v_add_f32_e32 v157, v51, v163
	;; [unrolled: 1-line block ×3, first 2 shown]
	v_sub_f32_e32 v161, v161, v170
	v_fmac_f32_e32 v155, -0.5, v52
	v_add_f32_e32 v52, v154, v160
	v_sub_f32_e32 v160, v160, v55
	v_add_f32_e32 v159, v51, v162
	v_add_f32_e32 v51, v158, v162
	v_fmac_f32_e32 v154, -0.5, v54
	v_add_f32_e32 v55, v52, v55
	v_fmamk_f32 v52, v160, 0x3f5db3d7, v155
	v_sub_f32_e32 v158, v158, v162
	v_fma_f32 v8, -0.5, v51, v8
	v_add_f32_e32 v162, v53, v170
	v_add_f32_e32 v51, v159, v55
	v_mul_f32_e32 v163, 0xbf5db3d7, v52
	v_mul_f32_e32 v164, 0.5, v52
	v_fmamk_f32 v52, v161, 0xbf5db3d7, v154
	v_fmamk_f32 v165, v156, 0xbf5db3d7, v8
	;; [unrolled: 1-line block ×3, first 2 shown]
	v_fmac_f32_e32 v155, 0xbf5db3d7, v160
	v_fmac_f32_e32 v154, 0x3f5db3d7, v161
	v_fmac_f32_e32 v163, 0.5, v52
	v_fmac_f32_e32 v164, 0x3f5db3d7, v52
	v_add_f32_e32 v52, v157, v162
	v_fmac_f32_e32 v8, 0x3f5db3d7, v156
	v_fmac_f32_e32 v9, 0xbf5db3d7, v158
	v_add_f32_e32 v53, v165, v163
	v_add_f32_e32 v54, v166, v164
	s_waitcnt vmcnt(0)
	ds_write2_b64 v167, v[51:52], v[53:54] offset1:10
	v_sub_f32_e32 v51, v159, v55
	v_mul_f32_e32 v55, -0.5, v155
	v_mul_f32_e32 v155, 0xbf5db3d7, v155
	v_sub_f32_e32 v52, v157, v162
	v_fmac_f32_e32 v55, 0x3f5db3d7, v154
	v_fmac_f32_e32 v155, -0.5, v154
	v_add_f32_e32 v54, v9, v55
	v_add_f32_e32 v53, v8, v155
	v_sub_f32_e32 v8, v8, v155
	buffer_load_dword v155, off, s[20:23], 0 offset:396 ; 4-byte Folded Reload
	v_sub_f32_e32 v9, v9, v55
	v_add_f32_e32 v55, v4, v148
	ds_write2_b64 v167, v[53:54], v[51:52] offset0:20 offset1:30
	v_sub_f32_e32 v51, v165, v163
	v_sub_f32_e32 v52, v166, v164
	v_add_f32_e32 v53, v149, v153
	v_sub_f32_e32 v54, v149, v153
	v_add_f32_e32 v55, v55, v151
	ds_write2_b64 v167, v[51:52], v[8:9] offset0:40 offset1:50
	v_add_f32_e32 v52, v5, v149
	v_add_f32_e32 v149, v148, v151
	;; [unrolled: 1-line block ×4, first 2 shown]
	v_sub_f32_e32 v148, v148, v151
	v_add_f32_e32 v52, v52, v153
	v_fma_f32 v149, -0.5, v149, v4
	v_fmac_f32_e32 v41, -0.5, v8
	v_add_f32_e32 v8, v37, v152
	v_add_f32_e32 v151, v9, v49
	v_sub_f32_e32 v49, v150, v49
	v_fmamk_f32 v153, v54, 0xbf5db3d7, v149
	v_fmac_f32_e32 v149, 0x3f5db3d7, v54
	buffer_load_dword v54, off, s[20:23], 0 offset:400 ; 4-byte Folded Reload
	v_add_f32_e32 v51, v8, v50
	v_add_f32_e32 v8, v152, v50
	v_sub_f32_e32 v50, v152, v50
	v_fma_f32 v53, -0.5, v53, v5
	v_add_f32_e32 v5, v52, v151
	v_add_f32_e32 v4, v55, v51
	v_fmac_f32_e32 v37, -0.5, v8
	v_fmamk_f32 v8, v50, 0x3f5db3d7, v41
	v_fmac_f32_e32 v41, 0xbf5db3d7, v50
	v_fmamk_f32 v154, v148, 0x3f5db3d7, v53
	v_fmac_f32_e32 v53, 0xbf5db3d7, v148
	v_sub_f32_e32 v50, v145, v48
	v_mul_f32_e32 v150, 0xbf5db3d7, v8
	v_mul_f32_e32 v152, 0.5, v8
	v_fmamk_f32 v8, v49, 0xbf5db3d7, v37
	v_fmac_f32_e32 v37, 0x3f5db3d7, v49
	v_mul_f32_e32 v49, 0xbf5db3d7, v41
	v_mul_f32_e32 v41, -0.5, v41
	v_fmac_f32_e32 v150, 0.5, v8
	v_fmac_f32_e32 v152, 0x3f5db3d7, v8
	v_fmac_f32_e32 v49, -0.5, v37
	v_fmac_f32_e32 v41, 0x3f5db3d7, v37
	v_sub_f32_e32 v37, v38, v146
	v_add_f32_e32 v8, v153, v150
	v_add_f32_e32 v9, v154, v152
	s_waitcnt vmcnt(1)
	ds_write2_b64 v155, v[4:5], v[8:9] offset1:10
	v_sub_f32_e32 v4, v55, v51
	v_sub_f32_e32 v5, v52, v151
	v_add_f32_e32 v8, v149, v49
	v_add_f32_e32 v9, v53, v41
	ds_write2_b64 v155, v[8:9], v[4:5] offset0:20 offset1:30
	v_sub_f32_e32 v4, v153, v150
	v_sub_f32_e32 v5, v154, v152
	;; [unrolled: 1-line block ×4, first 2 shown]
	ds_write2_b64 v155, v[4:5], v[8:9] offset0:40 offset1:50
	v_add_f32_e32 v4, v39, v147
	v_add_f32_e32 v5, v7, v39
	;; [unrolled: 1-line block ×4, first 2 shown]
	v_sub_f32_e32 v39, v39, v147
	v_fmac_f32_e32 v7, -0.5, v4
	v_add_f32_e32 v4, v42, v47
	v_sub_f32_e32 v42, v42, v47
	v_add_f32_e32 v49, v5, v147
	v_add_f32_e32 v47, v8, v47
	v_fmamk_f32 v53, v37, 0x3f5db3d7, v7
	v_fmac_f32_e32 v27, -0.5, v4
	v_add_f32_e32 v4, v145, v48
	v_add_f32_e32 v48, v9, v48
	v_fmac_f32_e32 v7, 0xbf5db3d7, v37
	v_fmac_f32_e32 v29, -0.5, v4
	v_add_f32_e32 v4, v6, v38
	v_add_f32_e32 v38, v38, v146
	;; [unrolled: 1-line block ×4, first 2 shown]
	v_fmamk_f32 v4, v42, 0x3f5db3d7, v29
	v_fmac_f32_e32 v29, 0xbf5db3d7, v42
	buffer_load_dword v42, off, s[20:23], 0 offset:404 ; 4-byte Folded Reload
	v_fma_f32 v6, -0.5, v38, v6
	v_mul_f32_e32 v51, 0xbf5db3d7, v4
	v_mul_f32_e32 v52, 0.5, v4
	v_fmamk_f32 v4, v50, 0xbf5db3d7, v27
	v_fmamk_f32 v38, v39, 0xbf5db3d7, v6
	v_fmac_f32_e32 v27, 0x3f5db3d7, v50
	v_mul_f32_e32 v37, -0.5, v29
	v_mul_f32_e32 v29, 0xbf5db3d7, v29
	v_fmac_f32_e32 v51, 0.5, v4
	v_fmac_f32_e32 v52, 0x3f5db3d7, v4
	v_add_f32_e32 v4, v41, v47
	v_fmac_f32_e32 v6, 0x3f5db3d7, v39
	v_fmac_f32_e32 v37, 0x3f5db3d7, v27
	v_add_f32_e32 v8, v38, v51
	v_add_f32_e32 v9, v53, v52
	v_fmac_f32_e32 v29, -0.5, v27
	v_sub_f32_e32 v27, v31, v44
	s_waitcnt vmcnt(1)
	ds_write2_b64 v54, v[4:5], v[8:9] offset1:10
	v_sub_f32_e32 v4, v41, v47
	v_sub_f32_e32 v5, v49, v48
	v_add_f32_e32 v9, v7, v37
	v_add_f32_e32 v8, v6, v29
	ds_write2_b64 v54, v[8:9], v[4:5] offset0:20 offset1:30
	v_add_f32_e32 v8, v1, v31
	v_add_f32_e32 v9, v31, v44
	;; [unrolled: 1-line block ×3, first 2 shown]
	v_sub_f32_e32 v5, v7, v37
	v_sub_f32_e32 v4, v6, v29
	;; [unrolled: 1-line block ×4, first 2 shown]
	v_fma_f32 v31, -0.5, v31, v0
	v_add_f32_e32 v29, v0, v30
	v_sub_f32_e32 v30, v30, v35
	v_fma_f32 v9, -0.5, v9, v1
	ds_write2_b64 v54, v[6:7], v[4:5] offset0:40 offset1:50
	v_fmamk_f32 v39, v27, 0xbf5db3d7, v31
	v_fmac_f32_e32 v31, 0x3f5db3d7, v27
	buffer_load_dword v27, off, s[20:23], 0 offset:412 ; 4-byte Folded Reload
	v_add_f32_e32 v4, v34, v45
	v_add_f32_e32 v5, v21, v34
	v_sub_f32_e32 v7, v43, v46
	v_sub_f32_e32 v34, v34, v45
	v_add_f32_e32 v8, v8, v44
	v_fmac_f32_e32 v21, -0.5, v4
	v_add_f32_e32 v4, v17, v43
	v_add_f32_e32 v29, v29, v35
	;; [unrolled: 1-line block ×3, first 2 shown]
	v_fmamk_f32 v41, v30, 0x3f5db3d7, v9
	v_fmac_f32_e32 v9, 0xbf5db3d7, v30
	v_add_f32_e32 v6, v4, v46
	v_add_f32_e32 v4, v43, v46
	;; [unrolled: 1-line block ×4, first 2 shown]
	v_fmac_f32_e32 v17, -0.5, v4
	v_fmamk_f32 v4, v7, 0x3f5db3d7, v21
	v_fmac_f32_e32 v21, 0xbf5db3d7, v7
	v_mul_f32_e32 v37, 0xbf5db3d7, v4
	v_mul_f32_e32 v38, 0.5, v4
	v_fmamk_f32 v4, v34, 0xbf5db3d7, v17
	v_fmac_f32_e32 v17, 0x3f5db3d7, v34
	v_mul_f32_e32 v7, -0.5, v21
	v_fmac_f32_e32 v37, 0.5, v4
	v_fmac_f32_e32 v38, 0x3f5db3d7, v4
	v_fmac_f32_e32 v7, 0x3f5db3d7, v17
	v_add_f32_e32 v4, v39, v37
	v_add_f32_e32 v5, v41, v38
	s_waitcnt vmcnt(1)
	ds_write2_b64 v42, v[0:1], v[4:5] offset1:10
	v_sub_f32_e32 v0, v29, v6
	v_mul_f32_e32 v6, 0xbf5db3d7, v21
	v_sub_f32_e32 v1, v8, v35
	v_add_f32_e32 v5, v9, v7
	v_sub_f32_e32 v21, v23, v33
	v_fmac_f32_e32 v6, -0.5, v17
	v_add_f32_e32 v4, v31, v6
	ds_write2_b64 v42, v[4:5], v[0:1] offset0:20 offset1:30
	v_sub_f32_e32 v0, v39, v37
	v_sub_f32_e32 v1, v41, v38
	;; [unrolled: 1-line block ×5, first 2 shown]
	v_add_f32_e32 v7, v18, v25
	v_sub_f32_e32 v9, v19, v26
	ds_write2_b64 v42, v[0:1], v[4:5] offset0:40 offset1:50
	v_add_f32_e32 v0, v19, v26
	v_add_f32_e32 v1, v3, v19
	;; [unrolled: 1-line block ×4, first 2 shown]
	v_fmac_f32_e32 v3, -0.5, v0
	v_add_f32_e32 v0, v22, v32
	v_add_f32_e32 v17, v1, v26
	;; [unrolled: 1-line block ×3, first 2 shown]
	v_fmamk_f32 v26, v6, 0x3f5db3d7, v3
	v_fmac_f32_e32 v13, -0.5, v0
	v_add_f32_e32 v0, v23, v33
	v_fmac_f32_e32 v3, 0xbf5db3d7, v6
	v_fmac_f32_e32 v15, -0.5, v0
	v_add_f32_e32 v0, v2, v18
	v_sub_f32_e32 v18, v22, v32
	v_fma_f32 v2, -0.5, v7, v2
	v_add_f32_e32 v22, v5, v33
	v_add_f32_e32 v8, v0, v25
	v_fmamk_f32 v0, v18, 0x3f5db3d7, v15
	v_fmamk_f32 v7, v9, 0xbf5db3d7, v2
	v_add_f32_e32 v1, v17, v22
	v_fmac_f32_e32 v15, 0xbf5db3d7, v18
	v_fmac_f32_e32 v2, 0x3f5db3d7, v9
	v_mul_f32_e32 v23, 0xbf5db3d7, v0
	v_mul_f32_e32 v25, 0.5, v0
	v_fmamk_f32 v0, v21, 0xbf5db3d7, v13
	v_fmac_f32_e32 v13, 0x3f5db3d7, v21
	v_mul_f32_e32 v6, -0.5, v15
	v_fmac_f32_e32 v23, 0.5, v0
	v_fmac_f32_e32 v25, 0x3f5db3d7, v0
	v_add_f32_e32 v0, v8, v19
	v_fmac_f32_e32 v6, 0x3f5db3d7, v13
	v_add_f32_e32 v4, v7, v23
	v_add_f32_e32 v5, v26, v25
	s_waitcnt vmcnt(0)
	ds_write2_b64 v27, v[0:1], v[4:5] offset1:10
	v_sub_f32_e32 v0, v8, v19
	v_mul_f32_e32 v8, 0xbf5db3d7, v15
	v_sub_f32_e32 v1, v17, v22
	v_add_f32_e32 v5, v3, v6
	v_fmac_f32_e32 v8, -0.5, v13
	v_add_f32_e32 v4, v2, v8
	ds_write2_b64 v27, v[4:5], v[0:1] offset0:20 offset1:30
	v_sub_f32_e32 v1, v3, v6
	v_sub_f32_e32 v0, v2, v8
	;; [unrolled: 1-line block ×4, first 2 shown]
	ds_write2_b64 v27, v[2:3], v[0:1] offset0:40 offset1:50
	s_waitcnt lgkmcnt(0)
	s_barrier
	buffer_gl0_inv
	ds_read2_b64 v[0:3], v144 offset0:104 offset1:164
	ds_read2_b64 v[4:7], v20 offset0:72 offset1:132
	s_waitcnt lgkmcnt(1)
	v_mul_f32_e32 v44, v57, v1
	v_mul_f32_e32 v32, v57, v3
	s_waitcnt lgkmcnt(0)
	v_mul_f32_e32 v55, v83, v5
	v_mul_f32_e32 v34, v95, v7
	v_fmac_f32_e32 v44, v56, v0
	v_mul_f32_e32 v0, v57, v0
	v_fmac_f32_e32 v32, v56, v2
	v_fmac_f32_e32 v55, v82, v4
	;; [unrolled: 1-line block ×3, first 2 shown]
	v_fma_f32 v48, v56, v1, -v0
	v_mul_f32_e32 v0, v57, v2
	v_fma_f32 v41, v56, v3, -v0
	ds_read2_b64 v[0:3], v40 offset0:80 offset1:140
	s_waitcnt lgkmcnt(0)
	v_mul_f32_e32 v146, v59, v1
	v_mul_f32_e32 v52, v59, v3
	v_fmac_f32_e32 v146, v58, v0
	v_mul_f32_e32 v0, v59, v0
	v_fmac_f32_e32 v52, v58, v2
	v_fma_f32 v147, v58, v1, -v0
	v_mul_f32_e32 v0, v59, v2
	v_fma_f32 v53, v58, v3, -v0
	ds_read2_b64 v[0:3], v36 offset0:56 offset1:116
	s_waitcnt lgkmcnt(0)
	v_mul_f32_e32 v148, v61, v1
	v_mul_f32_e32 v54, v61, v3
	v_fmac_f32_e32 v148, v60, v0
	v_mul_f32_e32 v0, v61, v0
	v_fmac_f32_e32 v54, v60, v2
	;; [unrolled: 10-line block ×4, first 2 shown]
	v_fma_f32 v39, v80, v1, -v0
	v_mul_f32_e32 v0, v83, v4
	v_fma_f32 v56, v82, v5, -v0
	v_mul_f32_e32 v0, v93, v2
	;; [unrolled: 2-line block ×3, first 2 shown]
	v_fma_f32 v37, v94, v7, -v0
	ds_read2_b64 v[0:3], v36 offset0:176 offset1:236
	ds_read2_b64 v[4:7], v16 offset0:24 offset1:84
	s_waitcnt lgkmcnt(1)
	v_mul_f32_e32 v58, v89, v1
	v_mul_f32_e32 v42, v85, v3
	s_waitcnt lgkmcnt(0)
	v_mul_f32_e32 v63, v91, v5
	v_mul_f32_e32 v47, v87, v7
	v_fmac_f32_e32 v58, v88, v0
	v_mul_f32_e32 v0, v89, v0
	v_fmac_f32_e32 v42, v84, v2
	v_fmac_f32_e32 v63, v90, v4
	;; [unrolled: 1-line block ×3, first 2 shown]
	v_fma_f32 v59, v88, v1, -v0
	v_mul_f32_e32 v0, v91, v4
	v_fma_f32 v80, v90, v5, -v0
	v_mul_f32_e32 v0, v85, v2
	;; [unrolled: 2-line block ×3, first 2 shown]
	v_fma_f32 v50, v86, v7, -v0
	ds_read2_b64 v[0:3], v10 offset0:88 offset1:148
	ds_read2_b64 v[4:7], v20 offset0:192 offset1:252
	s_waitcnt lgkmcnt(1)
	v_mul_f32_e32 v17, v77, v1
	v_mul_f32_e32 v13, v73, v3
	s_waitcnt lgkmcnt(0)
	v_mul_f32_e32 v31, v79, v5
	v_mul_f32_e32 v21, v75, v7
	v_fmac_f32_e32 v17, v76, v0
	v_mul_f32_e32 v0, v77, v0
	v_fmac_f32_e32 v13, v72, v2
	v_fmac_f32_e32 v31, v78, v4
	;; [unrolled: 1-line block ×3, first 2 shown]
	v_fma_f32 v18, v76, v1, -v0
	v_mul_f32_e32 v0, v79, v4
	v_fma_f32 v33, v78, v5, -v0
	v_mul_f32_e32 v0, v73, v2
	v_add_f32_e32 v73, v44, v148
	v_fma_f32 v15, v72, v3, -v0
	v_mul_f32_e32 v0, v75, v6
	v_sub_f32_e32 v72, v147, v151
	v_fma_f32 v23, v74, v7, -v0
	ds_read2_b64 v[0:3], v28 offset0:40 offset1:100
	ds_read2_b64 v[4:7], v16 offset0:144 offset1:204
	s_waitcnt lgkmcnt(1)
	v_mul_f32_e32 v45, v69, v1
	v_mul_f32_e32 v25, v65, v3
	s_waitcnt lgkmcnt(0)
	v_mul_f32_e32 v51, v71, v5
	v_mul_f32_e32 v29, v67, v7
	v_fmac_f32_e32 v45, v68, v0
	v_mul_f32_e32 v0, v69, v0
	v_fmac_f32_e32 v25, v64, v2
	v_fmac_f32_e32 v51, v70, v4
	;; [unrolled: 1-line block ×3, first 2 shown]
	v_fma_f32 v46, v68, v1, -v0
	v_mul_f32_e32 v0, v71, v4
	v_sub_f32_e32 v71, v146, v150
	v_fma_f32 v49, v70, v5, -v0
	v_mul_f32_e32 v0, v65, v2
	v_fma_f32 v26, v64, v3, -v0
	v_mul_f32_e32 v0, v67, v6
	v_fma_f32 v30, v66, v7, -v0
	ds_read2_b64 v[0:3], v12 offset0:8 offset1:68
	s_waitcnt lgkmcnt(0)
	v_mul_f32_e32 v4, v249, v1
	v_mul_f32_e32 v68, v249, v3
	v_fmac_f32_e32 v4, v248, v0
	v_mul_f32_e32 v0, v249, v0
	v_fmac_f32_e32 v68, v248, v2
	v_sub_f32_e32 v78, v148, v4
	v_fma_f32 v5, v248, v1, -v0
	v_mul_f32_e32 v0, v249, v2
	v_add_f32_e32 v79, v73, v4
	v_sub_f32_e32 v81, v149, v5
	v_fma_f32 v69, v248, v3, -v0
	ds_read2_b64 v[0:3], v12 offset0:128 offset1:188
	s_clause 0x1
	buffer_load_dword v6, off, s[20:23], 0 offset:456
	buffer_load_dword v7, off, s[20:23], 0 offset:460
	s_waitcnt vmcnt(0) lgkmcnt(0)
	v_mul_f32_e32 v66, v7, v1
	v_fmac_f32_e32 v66, v6, v0
	v_mul_f32_e32 v0, v7, v0
	v_fma_f32 v67, v6, v1, -v0
	s_clause 0x1
	buffer_load_dword v6, off, s[20:23], 0 offset:448
	buffer_load_dword v7, off, s[20:23], 0 offset:452
	s_waitcnt vmcnt(0)
	v_mul_f32_e32 v64, v7, v3
	v_mul_f32_e32 v0, v7, v2
	v_fmac_f32_e32 v64, v6, v2
	v_fma_f32 v65, v6, v3, -v0
	ds_read2_b64 v[0:3], v14 offset0:120 offset1:180
	s_clause 0x1
	buffer_load_dword v6, off, s[20:23], 0 offset:440
	buffer_load_dword v7, off, s[20:23], 0 offset:444
	s_waitcnt vmcnt(0) lgkmcnt(0)
	v_mul_f32_e32 v60, v7, v1
	v_fmac_f32_e32 v60, v6, v0
	v_mul_f32_e32 v0, v7, v0
	v_fma_f32 v61, v6, v1, -v0
	s_clause 0x1
	buffer_load_dword v6, off, s[20:23], 0 offset:432
	buffer_load_dword v7, off, s[20:23], 0 offset:436
	s_waitcnt vmcnt(0)
	v_mul_f32_e32 v35, v7, v3
	v_mul_f32_e32 v0, v7, v2
	v_fmac_f32_e32 v35, v6, v2
	v_fma_f32 v38, v6, v3, -v0
	ds_read2_b64 v[6:9], v242 offset1:60
	v_add_f32_e32 v3, v48, v149
	v_add_f32_e32 v2, v147, v151
	;; [unrolled: 1-line block ×3, first 2 shown]
	s_waitcnt lgkmcnt(0)
	v_add_f32_e32 v1, v7, v147
	v_add_f32_e32 v0, v6, v146
	v_fma_f32 v86, -0.5, v2, v7
	v_add_f32_e32 v77, v1, v151
	v_add_f32_e32 v1, v149, v5
	;; [unrolled: 1-line block ×4, first 2 shown]
	v_fmamk_f32 v88, v71, 0x3f5db3d7, v86
	v_add_f32_e32 v74, v77, v82
	v_fmac_f32_e32 v48, -0.5, v1
	v_add_f32_e32 v1, v148, v4
	v_fma_f32 v85, -0.5, v0, v6
	v_add_f32_e32 v73, v70, v79
	v_fmac_f32_e32 v86, 0xbf5db3d7, v71
	v_fmac_f32_e32 v44, -0.5, v1
	v_fmamk_f32 v1, v78, 0x3f5db3d7, v48
	v_fmac_f32_e32 v48, 0xbf5db3d7, v78
	v_fmamk_f32 v87, v72, 0xbf5db3d7, v85
	v_fmac_f32_e32 v85, 0x3f5db3d7, v72
	v_mul_f32_e32 v83, 0xbf5db3d7, v1
	v_mul_f32_e32 v84, 0.5, v1
	v_fmamk_f32 v1, v81, 0xbf5db3d7, v44
	v_fmac_f32_e32 v44, 0x3f5db3d7, v81
	v_mul_f32_e32 v72, 0xbf5db3d7, v48
	v_mul_f32_e32 v48, -0.5, v48
	v_fmac_f32_e32 v83, 0.5, v1
	v_fmac_f32_e32 v84, 0x3f5db3d7, v1
	v_fmac_f32_e32 v72, -0.5, v44
	v_fmac_f32_e32 v48, 0x3f5db3d7, v44
	ds_read2_b64 v[4:7], v242 offset0:120 offset1:180
	ds_read2_b64 v[0:3], v11 offset0:112 offset1:172
	v_add_f32_e32 v75, v87, v83
	v_add_f32_e32 v76, v88, v84
	s_waitcnt lgkmcnt(0)
	s_barrier
	buffer_gl0_inv
	v_add_f32_e32 v71, v86, v48
	ds_write2_b64 v242, v[73:74], v[75:76] offset1:60
	v_sub_f32_e32 v73, v70, v79
	v_sub_f32_e32 v74, v77, v82
	v_add_f32_e32 v70, v85, v72
	v_sub_f32_e32 v72, v85, v72
	v_add_f32_e32 v44, v53, v62
	ds_write2_b64 v242, v[70:71], v[73:74] offset0:120 offset1:180
	v_sub_f32_e32 v70, v87, v83
	v_sub_f32_e32 v71, v88, v84
	v_sub_f32_e32 v73, v86, v48
	v_add_f32_e32 v48, v9, v53
	v_fmac_f32_e32 v9, -0.5, v44
	v_add_f32_e32 v44, v8, v52
	ds_write2_b64 v11, v[70:71], v[72:73] offset0:112 offset1:172
	v_add_f32_e32 v70, v52, v145
	v_sub_f32_e32 v71, v52, v145
	v_add_f32_e32 v52, v57, v69
	v_sub_f32_e32 v72, v53, v62
	v_add_f32_e32 v48, v48, v62
	v_add_f32_e32 v53, v41, v57
	v_add_f32_e32 v62, v32, v54
	v_fmac_f32_e32 v41, -0.5, v52
	v_add_f32_e32 v52, v54, v68
	v_sub_f32_e32 v54, v54, v68
	v_sub_f32_e32 v57, v57, v69
	v_fma_f32 v8, -0.5, v70, v8
	v_add_f32_e32 v44, v44, v145
	v_fmac_f32_e32 v32, -0.5, v52
	v_fmamk_f32 v52, v54, 0x3f5db3d7, v41
	v_add_f32_e32 v62, v62, v68
	v_add_f32_e32 v73, v53, v69
	v_fmamk_f32 v70, v72, 0xbf5db3d7, v8
	v_fmamk_f32 v76, v71, 0x3f5db3d7, v9
	v_mul_f32_e32 v74, 0xbf5db3d7, v52
	v_mul_f32_e32 v75, 0.5, v52
	v_fmamk_f32 v52, v57, 0xbf5db3d7, v32
	v_add_f32_e32 v53, v48, v73
	v_fmac_f32_e32 v41, 0xbf5db3d7, v54
	v_fmac_f32_e32 v32, 0x3f5db3d7, v57
	;; [unrolled: 1-line block ×3, first 2 shown]
	v_fmac_f32_e32 v74, 0.5, v52
	v_fmac_f32_e32 v75, 0x3f5db3d7, v52
	v_add_f32_e32 v52, v44, v62
	v_fmac_f32_e32 v9, 0xbf5db3d7, v71
	v_add_f32_e32 v54, v27, v58
	v_add_f32_e32 v68, v70, v74
	;; [unrolled: 1-line block ×4, first 2 shown]
	ds_write2_b64 v144, v[52:53], v[68:69] offset0:104 offset1:164
	v_sub_f32_e32 v52, v44, v62
	v_mul_f32_e32 v44, 0xbf5db3d7, v41
	v_mul_f32_e32 v41, -0.5, v41
	v_sub_f32_e32 v53, v48, v73
	v_sub_f32_e32 v48, v56, v80
	v_fmac_f32_e32 v44, -0.5, v32
	v_fmac_f32_e32 v41, 0x3f5db3d7, v32
	v_add_f32_e32 v68, v8, v44
	v_add_f32_e32 v69, v9, v41
	v_sub_f32_e32 v9, v9, v41
	v_sub_f32_e32 v8, v8, v44
	v_add_f32_e32 v44, v56, v80
	v_sub_f32_e32 v41, v55, v63
	ds_write2_b64 v24, v[68:69], v[52:53] offset0:96 offset1:156
	v_sub_f32_e32 v52, v70, v74
	v_sub_f32_e32 v53, v76, v75
	v_fma_f32 v44, -0.5, v44, v5
	ds_write2_b64 v10, v[52:53], v[8:9] offset0:88 offset1:148
	v_add_f32_e32 v9, v5, v56
	v_add_f32_e32 v53, v39, v59
	v_sub_f32_e32 v56, v59, v67
	v_add_f32_e32 v8, v4, v55
	v_add_f32_e32 v52, v9, v80
	;; [unrolled: 1-line block ×4, first 2 shown]
	buffer_load_dword v67, off, s[20:23], 0 offset:416 ; 4-byte Folded Reload
	v_add_f32_e32 v32, v8, v63
	v_add_f32_e32 v8, v55, v63
	v_fmac_f32_e32 v39, -0.5, v9
	v_add_f32_e32 v9, v58, v66
	v_sub_f32_e32 v55, v58, v66
	v_fmamk_f32 v63, v41, 0x3f5db3d7, v44
	v_fma_f32 v59, -0.5, v8, v4
	v_add_f32_e32 v4, v32, v54
	v_fmac_f32_e32 v27, -0.5, v9
	v_fmamk_f32 v9, v55, 0x3f5db3d7, v39
	v_add_f32_e32 v5, v52, v53
	v_fmamk_f32 v62, v48, 0xbf5db3d7, v59
	v_fmac_f32_e32 v39, 0xbf5db3d7, v55
	v_fmac_f32_e32 v59, 0x3f5db3d7, v48
	v_mul_f32_e32 v57, 0xbf5db3d7, v9
	v_mul_f32_e32 v58, 0.5, v9
	v_fmamk_f32 v9, v56, 0xbf5db3d7, v27
	v_fmac_f32_e32 v27, 0x3f5db3d7, v56
	v_fmac_f32_e32 v44, 0xbf5db3d7, v41
	v_fmac_f32_e32 v57, 0.5, v9
	v_fmac_f32_e32 v58, 0x3f5db3d7, v9
	v_add_f32_e32 v8, v62, v57
	v_add_f32_e32 v9, v63, v58
	s_waitcnt vmcnt(0)
	v_add_nc_u32_e32 v66, 0x1400, v67
	ds_write2_b64 v66, v[4:5], v[8:9] offset0:80 offset1:140
	v_sub_f32_e32 v5, v52, v53
	buffer_load_dword v53, off, s[20:23], 0 offset:420 ; 4-byte Folded Reload
	v_sub_f32_e32 v4, v32, v54
	v_mul_f32_e32 v32, 0xbf5db3d7, v39
	v_mul_f32_e32 v39, -0.5, v39
	v_fmac_f32_e32 v32, -0.5, v27
	v_fmac_f32_e32 v39, 0x3f5db3d7, v27
	v_add_nc_u32_e32 v27, 0x1800, v67
	v_add_f32_e32 v8, v59, v32
	v_add_f32_e32 v9, v44, v39
	ds_write2_b64 v27, v[8:9], v[4:5] offset0:72 offset1:132
	v_sub_f32_e32 v4, v62, v57
	v_sub_f32_e32 v5, v63, v58
	;; [unrolled: 1-line block ×6, first 2 shown]
	ds_write2_b64 v27, v[4:5], v[8:9] offset0:192 offset1:252
	v_add_f32_e32 v4, v37, v50
	v_add_f32_e32 v5, v7, v37
	v_add_f32_e32 v8, v22, v43
	v_add_f32_e32 v9, v19, v42
	v_fmac_f32_e32 v7, -0.5, v4
	v_add_f32_e32 v4, v6, v34
	v_add_f32_e32 v41, v9, v64
	;; [unrolled: 1-line block ×4, first 2 shown]
	v_sub_f32_e32 v34, v37, v50
	v_add_f32_e32 v37, v5, v50
	v_add_f32_e32 v5, v43, v65
	v_fmamk_f32 v50, v32, 0x3f5db3d7, v7
	v_fma_f32 v6, -0.5, v4, v6
	v_add_f32_e32 v4, v27, v41
	v_fmac_f32_e32 v7, 0xbf5db3d7, v32
	v_fmac_f32_e32 v22, -0.5, v5
	v_add_f32_e32 v5, v42, v64
	v_sub_f32_e32 v42, v43, v65
	v_add_f32_e32 v43, v8, v65
	v_fmamk_f32 v48, v34, 0xbf5db3d7, v6
	v_fmac_f32_e32 v6, 0x3f5db3d7, v34
	v_fmac_f32_e32 v19, -0.5, v5
	v_fmamk_f32 v5, v39, 0x3f5db3d7, v22
	v_fmac_f32_e32 v22, 0xbf5db3d7, v39
	v_sub_f32_e32 v32, v46, v61
	v_mul_f32_e32 v44, 0xbf5db3d7, v5
	v_mul_f32_e32 v47, 0.5, v5
	v_fmamk_f32 v5, v42, 0xbf5db3d7, v19
	v_fmac_f32_e32 v19, 0x3f5db3d7, v42
	v_fmac_f32_e32 v44, 0.5, v5
	v_fmac_f32_e32 v47, 0x3f5db3d7, v5
	v_add_f32_e32 v5, v37, v43
	v_add_f32_e32 v8, v48, v44
	;; [unrolled: 1-line block ×3, first 2 shown]
	s_waitcnt vmcnt(0)
	v_add_nc_u32_e32 v52, 0x2000, v53
	ds_write2_b64 v52, v[4:5], v[8:9] offset0:56 offset1:116
	v_sub_f32_e32 v5, v37, v43
	buffer_load_dword v43, off, s[20:23], 0 offset:424 ; 4-byte Folded Reload
	v_sub_f32_e32 v4, v27, v41
	v_mul_f32_e32 v27, 0xbf5db3d7, v22
	v_mul_f32_e32 v22, -0.5, v22
	v_fmac_f32_e32 v27, -0.5, v19
	v_fmac_f32_e32 v22, 0x3f5db3d7, v19
	v_add_f32_e32 v8, v6, v27
	v_add_f32_e32 v9, v7, v22
	ds_write2_b64 v52, v[8:9], v[4:5] offset0:176 offset1:236
	v_sub_f32_e32 v5, v7, v22
	v_sub_f32_e32 v4, v6, v27
	;; [unrolled: 1-line block ×4, first 2 shown]
	v_add_nc_u32_e32 v8, 0x2800, v53
	v_add_f32_e32 v22, v18, v46
	v_add_f32_e32 v27, v17, v45
	v_sub_f32_e32 v9, v33, v49
	ds_write2_b64 v8, v[6:7], v[4:5] offset0:40 offset1:100
	v_add_f32_e32 v5, v1, v33
	v_add_f32_e32 v4, v0, v31
	v_sub_f32_e32 v7, v31, v51
	v_add_f32_e32 v8, v33, v49
	v_add_f32_e32 v27, v27, v60
	;; [unrolled: 1-line block ×6, first 2 shown]
	v_sub_f32_e32 v31, v45, v60
	v_fma_f32 v8, -0.5, v8, v1
	v_fmac_f32_e32 v18, -0.5, v5
	v_add_f32_e32 v5, v45, v60
	v_fma_f32 v37, -0.5, v4, v0
	v_add_f32_e32 v22, v22, v61
	v_fmamk_f32 v41, v7, 0x3f5db3d7, v8
	v_add_f32_e32 v0, v6, v27
	v_fmac_f32_e32 v17, -0.5, v5
	v_fmamk_f32 v5, v31, 0x3f5db3d7, v18
	v_fmamk_f32 v39, v9, 0xbf5db3d7, v37
	v_add_f32_e32 v1, v19, v22
	v_fmac_f32_e32 v18, 0xbf5db3d7, v31
	v_fmac_f32_e32 v8, 0xbf5db3d7, v7
	v_mul_f32_e32 v33, 0xbf5db3d7, v5
	v_mul_f32_e32 v34, 0.5, v5
	v_fmamk_f32 v5, v32, 0xbf5db3d7, v17
	v_fmac_f32_e32 v17, 0x3f5db3d7, v32
	v_mul_f32_e32 v7, -0.5, v18
	v_fmac_f32_e32 v37, 0x3f5db3d7, v9
	v_fmac_f32_e32 v33, 0.5, v5
	v_fmac_f32_e32 v34, 0x3f5db3d7, v5
	v_fmac_f32_e32 v7, 0x3f5db3d7, v17
	v_add_f32_e32 v4, v39, v33
	v_add_f32_e32 v5, v41, v34
	s_waitcnt vmcnt(0)
	v_add_nc_u32_e32 v42, 0x2800, v43
	v_add_nc_u32_e32 v9, 0x3000, v43
	ds_write2_b64 v42, v[0:1], v[4:5] offset0:160 offset1:220
	v_sub_f32_e32 v0, v6, v27
	v_mul_f32_e32 v6, 0xbf5db3d7, v18
	v_sub_f32_e32 v1, v19, v22
	v_add_f32_e32 v5, v8, v7
	v_sub_f32_e32 v19, v26, v38
	v_fmac_f32_e32 v6, -0.5, v17
	v_sub_f32_e32 v17, v25, v35
	v_add_f32_e32 v4, v37, v6
	ds_write2_b64 v9, v[4:5], v[0:1] offset0:24 offset1:84
	v_sub_f32_e32 v0, v39, v33
	v_sub_f32_e32 v1, v41, v34
	;; [unrolled: 1-line block ×6, first 2 shown]
	ds_write2_b64 v9, v[0:1], v[4:5] offset0:144 offset1:204
	v_add_f32_e32 v0, v23, v30
	v_add_f32_e32 v1, v3, v23
	;; [unrolled: 1-line block ×4, first 2 shown]
	v_fmac_f32_e32 v3, -0.5, v0
	v_add_f32_e32 v0, v2, v21
	v_add_f32_e32 v9, v1, v30
	;; [unrolled: 1-line block ×4, first 2 shown]
	v_fmamk_f32 v26, v7, 0x3f5db3d7, v3
	v_add_f32_e32 v6, v0, v29
	v_add_f32_e32 v0, v21, v29
	buffer_load_dword v29, off, s[20:23], 0 offset:428 ; 4-byte Folded Reload
	v_fmac_f32_e32 v15, -0.5, v1
	v_add_f32_e32 v1, v25, v35
	v_add_f32_e32 v21, v4, v38
	v_fma_f32 v2, -0.5, v0, v2
	v_add_f32_e32 v0, v6, v18
	v_fmac_f32_e32 v3, 0xbf5db3d7, v7
	v_fmac_f32_e32 v13, -0.5, v1
	v_fmamk_f32 v1, v17, 0x3f5db3d7, v15
	v_fmamk_f32 v25, v8, 0xbf5db3d7, v2
	v_fmac_f32_e32 v15, 0xbf5db3d7, v17
	v_fmac_f32_e32 v2, 0x3f5db3d7, v8
	v_mul_f32_e32 v22, 0xbf5db3d7, v1
	v_mul_f32_e32 v23, 0.5, v1
	v_fmamk_f32 v1, v19, 0xbf5db3d7, v13
	v_fmac_f32_e32 v13, 0x3f5db3d7, v19
	v_mul_f32_e32 v7, -0.5, v15
	v_fmac_f32_e32 v22, 0.5, v1
	v_fmac_f32_e32 v23, 0x3f5db3d7, v1
	v_add_f32_e32 v1, v9, v21
	v_fmac_f32_e32 v7, 0x3f5db3d7, v13
	v_add_f32_e32 v4, v25, v22
	v_add_f32_e32 v5, v26, v23
	s_waitcnt vmcnt(0)
	v_add_nc_u32_e32 v27, 0x3800, v29
	ds_write2_b64 v27, v[0:1], v[4:5] offset0:8 offset1:68
	v_sub_f32_e32 v0, v6, v18
	v_mul_f32_e32 v6, 0xbf5db3d7, v15
	v_sub_f32_e32 v1, v9, v21
	v_add_f32_e32 v5, v3, v7
	v_fmac_f32_e32 v6, -0.5, v13
	v_add_f32_e32 v4, v2, v6
	ds_write2_b64 v27, v[4:5], v[0:1] offset0:128 offset1:188
	v_sub_f32_e32 v1, v3, v7
	v_sub_f32_e32 v0, v2, v6
	;; [unrolled: 1-line block ×4, first 2 shown]
	v_add_nc_u32_e32 v4, 0x3c00, v29
	ds_write2_b64 v4, v[2:3], v[0:1] offset0:120 offset1:180
	s_waitcnt lgkmcnt(0)
	s_barrier
	buffer_gl0_inv
	ds_read2_b64 v[0:3], v144 offset0:104 offset1:164
	ds_read2_b64 v[4:7], v40 offset0:80 offset1:140
	s_waitcnt lgkmcnt(1)
	v_mul_f32_e32 v69, v105, v1
	v_mul_f32_e32 v27, v109, v3
	s_waitcnt lgkmcnt(0)
	v_mul_f32_e32 v71, v107, v5
	v_mul_f32_e32 v47, v111, v7
	v_fmac_f32_e32 v69, v104, v0
	v_mul_f32_e32 v0, v105, v0
	v_fmac_f32_e32 v27, v108, v2
	v_fmac_f32_e32 v71, v106, v4
	;; [unrolled: 1-line block ×3, first 2 shown]
	v_fma_f32 v70, v104, v1, -v0
	v_mul_f32_e32 v0, v107, v4
	v_fma_f32 v72, v106, v5, -v0
	v_mul_f32_e32 v0, v109, v2
	;; [unrolled: 2-line block ×3, first 2 shown]
	v_fma_f32 v50, v110, v7, -v0
	ds_read2_b64 v[0:3], v36 offset0:56 offset1:116
	ds_read2_b64 v[4:7], v28 offset0:160 offset1:220
	s_waitcnt lgkmcnt(1)
	v_mul_f32_e32 v75, v113, v1
	v_mul_f32_e32 v51, v97, v3
	s_waitcnt lgkmcnt(0)
	v_mul_f32_e32 v77, v115, v5
	v_mul_f32_e32 v55, v99, v7
	v_fmac_f32_e32 v75, v112, v0
	v_mul_f32_e32 v0, v113, v0
	v_fmac_f32_e32 v51, v96, v2
	v_fmac_f32_e32 v77, v114, v4
	;; [unrolled: 1-line block ×3, first 2 shown]
	v_add_f32_e32 v8, v69, v75
	v_fma_f32 v76, v112, v1, -v0
	v_mul_f32_e32 v0, v115, v4
	v_fma_f32 v78, v114, v5, -v0
	v_mul_f32_e32 v0, v97, v2
	;; [unrolled: 2-line block ×3, first 2 shown]
	v_fma_f32 v57, v98, v7, -v0
	ds_read2_b64 v[0:3], v24 offset0:96 offset1:156
	ds_read2_b64 v[4:7], v20 offset0:72 offset1:132
	s_waitcnt lgkmcnt(1)
	v_mul_f32_e32 v42, v125, v1
	v_mul_f32_e32 v15, v121, v3
	s_waitcnt lgkmcnt(0)
	v_mul_f32_e32 v44, v127, v5
	v_mul_f32_e32 v31, v123, v7
	v_fmac_f32_e32 v42, v124, v0
	v_mul_f32_e32 v0, v125, v0
	v_fmac_f32_e32 v15, v120, v2
	v_fmac_f32_e32 v44, v126, v4
	;; [unrolled: 1-line block ×3, first 2 shown]
	v_fma_f32 v48, v124, v1, -v0
	v_mul_f32_e32 v0, v127, v4
	v_fma_f32 v46, v126, v5, -v0
	v_mul_f32_e32 v0, v121, v2
	;; [unrolled: 2-line block ×3, first 2 shown]
	v_fma_f32 v22, v122, v7, -v0
	ds_read2_b64 v[0:3], v36 offset0:176 offset1:236
	ds_read2_b64 v[4:7], v16 offset0:24 offset1:84
	s_waitcnt lgkmcnt(1)
	v_mul_f32_e32 v63, v129, v1
	v_mul_f32_e32 v43, v101, v3
	s_waitcnt lgkmcnt(0)
	v_mul_f32_e32 v56, v131, v5
	v_mul_f32_e32 v26, v103, v7
	v_fmac_f32_e32 v63, v128, v0
	v_mul_f32_e32 v0, v129, v0
	v_fmac_f32_e32 v43, v100, v2
	v_fmac_f32_e32 v56, v130, v4
	;; [unrolled: 1-line block ×3, first 2 shown]
	v_fma_f32 v64, v128, v1, -v0
	v_mul_f32_e32 v0, v131, v4
	v_sub_f32_e32 v80, v44, v56
	v_fma_f32 v58, v130, v5, -v0
	v_mul_f32_e32 v0, v101, v2
	v_sub_f32_e32 v79, v46, v58
	v_fma_f32 v45, v100, v3, -v0
	v_mul_f32_e32 v0, v103, v6
	v_fma_f32 v29, v102, v7, -v0
	ds_read2_b64 v[0:3], v10 offset0:88 offset1:148
	ds_read2_b64 v[4:7], v20 offset0:192 offset1:252
	s_waitcnt lgkmcnt(1)
	v_mul_f32_e32 v13, v137, v1
	v_mul_f32_e32 v17, v133, v3
	s_waitcnt lgkmcnt(0)
	v_mul_f32_e32 v23, v139, v5
	v_mul_f32_e32 v49, v135, v7
	v_fmac_f32_e32 v13, v136, v0
	v_mul_f32_e32 v0, v137, v0
	v_fmac_f32_e32 v17, v132, v2
	v_fmac_f32_e32 v23, v138, v4
	;; [unrolled: 1-line block ×3, first 2 shown]
	v_fma_f32 v18, v136, v1, -v0
	v_mul_f32_e32 v0, v139, v4
	v_fma_f32 v24, v138, v5, -v0
	v_mul_f32_e32 v0, v133, v2
	;; [unrolled: 2-line block ×3, first 2 shown]
	v_fma_f32 v25, v134, v7, -v0
	ds_read2_b64 v[0:3], v28 offset0:40 offset1:100
	ds_read2_b64 v[4:7], v16 offset0:144 offset1:204
	s_waitcnt lgkmcnt(1)
	v_mul_f32_e32 v39, v141, v1
	v_mul_f32_e32 v59, v117, v3
	s_waitcnt lgkmcnt(0)
	v_mul_f32_e32 v32, v119, v7
	v_mul_f32_e32 v35, v143, v5
	v_fmac_f32_e32 v39, v140, v0
	v_mul_f32_e32 v0, v141, v0
	v_fmac_f32_e32 v59, v116, v2
	v_fmac_f32_e32 v32, v118, v6
	;; [unrolled: 1-line block ×3, first 2 shown]
	v_fma_f32 v37, v140, v1, -v0
	v_mul_f32_e32 v0, v143, v4
	v_fma_f32 v41, v142, v5, -v0
	v_mul_f32_e32 v0, v117, v2
	;; [unrolled: 2-line block ×3, first 2 shown]
	v_fma_f32 v30, v118, v7, -v0
	ds_read2_b64 v[0:3], v12 offset0:8 offset1:68
	s_clause 0x1
	buffer_load_dword v5, off, s[20:23], 0 offset:472
	buffer_load_dword v6, off, s[20:23], 0 offset:476
	s_waitcnt vmcnt(0) lgkmcnt(0)
	v_mul_f32_e32 v4, v6, v1
	v_fmac_f32_e32 v4, v5, v0
	v_mul_f32_e32 v0, v6, v0
	s_clause 0x1
	buffer_load_dword v6, off, s[20:23], 0 offset:464
	buffer_load_dword v7, off, s[20:23], 0 offset:468
	v_add_f32_e32 v73, v8, v4
	v_fma_f32 v5, v5, v1, -v0
	v_add_f32_e32 v8, v70, v76
	v_add_f32_e32 v74, v8, v5
	s_waitcnt vmcnt(0)
	v_mul_f32_e32 v68, v7, v3
	v_mul_f32_e32 v0, v7, v2
	v_fmac_f32_e32 v68, v6, v2
	v_fma_f32 v67, v6, v3, -v0
	ds_read2_b64 v[0:3], v12 offset0:128 offset1:188
	s_clause 0x1
	buffer_load_dword v6, off, s[20:23], 0 offset:488
	buffer_load_dword v7, off, s[20:23], 0 offset:492
	s_waitcnt vmcnt(0) lgkmcnt(0)
	v_mul_f32_e32 v65, v7, v1
	v_fmac_f32_e32 v65, v6, v0
	v_mul_f32_e32 v0, v7, v0
	v_fma_f32 v66, v6, v1, -v0
	s_clause 0x1
	buffer_load_dword v6, off, s[20:23], 0 offset:480
	buffer_load_dword v7, off, s[20:23], 0 offset:484
	s_waitcnt vmcnt(0)
	v_mul_f32_e32 v60, v7, v3
	v_mul_f32_e32 v0, v7, v2
	v_fmac_f32_e32 v60, v6, v2
	v_fma_f32 v61, v6, v3, -v0
	ds_read2_b64 v[0:3], v14 offset0:120 offset1:180
	s_clause 0x1
	buffer_load_dword v6, off, s[20:23], 0 offset:504
	buffer_load_dword v7, off, s[20:23], 0 offset:508
	s_waitcnt vmcnt(0) lgkmcnt(0)
	v_mul_f32_e32 v53, v7, v1
	v_fmac_f32_e32 v53, v6, v0
	v_mul_f32_e32 v0, v7, v0
	v_fma_f32 v52, v6, v1, -v0
	s_clause 0x1
	buffer_load_dword v6, off, s[20:23], 0 offset:496
	buffer_load_dword v7, off, s[20:23], 0 offset:500
	s_waitcnt vmcnt(0)
	v_mul_f32_e32 v34, v7, v3
	v_mul_f32_e32 v0, v7, v2
	v_fmac_f32_e32 v34, v6, v2
	v_fma_f32 v38, v6, v3, -v0
	ds_read2_b64 v[0:3], v242 offset1:60
	s_waitcnt lgkmcnt(0)
	v_add_f32_e32 v6, v0, v71
	v_add_f32_e32 v7, v1, v72
	;; [unrolled: 1-line block ×6, first 2 shown]
	v_sub_f32_e32 v73, v6, v73
	v_sub_f32_e32 v74, v7, v74
	v_add_f32_e32 v6, v72, v78
	v_sub_f32_e32 v7, v72, v78
	v_add_f32_e32 v72, v76, v5
	v_sub_f32_e32 v5, v76, v5
	v_fma_f32 v6, -0.5, v6, v1
	v_fmac_f32_e32 v70, -0.5, v72
	v_add_f32_e32 v72, v75, v4
	v_sub_f32_e32 v4, v75, v4
	v_add_f32_e32 v75, v71, v77
	v_sub_f32_e32 v71, v71, v77
	v_fmac_f32_e32 v69, -0.5, v72
	v_fmamk_f32 v72, v4, 0x3f5db3d7, v70
	v_fmac_f32_e32 v70, 0xbf5db3d7, v4
	v_fmamk_f32 v78, v71, 0x3f5db3d7, v6
	v_fmac_f32_e32 v6, 0xbf5db3d7, v71
	v_fmamk_f32 v77, v5, 0xbf5db3d7, v69
	v_mul_f32_e32 v76, 0xbf5db3d7, v72
	v_mul_f32_e32 v72, 0.5, v72
	v_fmac_f32_e32 v69, 0x3f5db3d7, v5
	v_mul_f32_e32 v4, 0xbf5db3d7, v70
	v_mul_f32_e32 v5, -0.5, v70
	v_fmac_f32_e32 v76, 0.5, v77
	v_fmac_f32_e32 v72, 0x3f5db3d7, v77
	v_fma_f32 v77, -0.5, v75, v0
	v_fmac_f32_e32 v4, -0.5, v69
	v_fmac_f32_e32 v5, 0x3f5db3d7, v69
	v_add_f32_e32 v1, v78, v72
	v_fmamk_f32 v75, v7, 0xbf5db3d7, v77
	v_fmac_f32_e32 v77, 0x3f5db3d7, v7
	v_add_f32_e32 v70, v6, v5
	v_add_f32_e32 v0, v75, v76
	v_add_f32_e32 v69, v77, v4
	v_sub_f32_e32 v75, v75, v76
	v_sub_f32_e32 v76, v78, v72
	;; [unrolled: 1-line block ×4, first 2 shown]
	ds_read2_b64 v[4:7], v242 offset0:120 offset1:180
	ds_write_b64 v242, v[0:1] offset:2880
	ds_write_b64 v242, v[69:70] offset:5760
	v_add_f32_e32 v0, v2, v47
	ds_read2_b64 v[69:72], v11 offset0:112 offset1:172
	ds_write_b64 v242, v[73:74] offset:8640
	ds_write_b64 v242, v[75:76] offset:11520
	;; [unrolled: 1-line block ×3, first 2 shown]
	v_add_f32_e32 v73, v0, v55
	v_add_f32_e32 v0, v3, v50
	;; [unrolled: 1-line block ×9, first 2 shown]
	ds_write2_b64 v242, v[8:9], v[0:1] offset1:60
	v_sub_f32_e32 v0, v73, v75
	v_sub_f32_e32 v1, v74, v76
	v_add_f32_e32 v8, v44, v56
	ds_write_b64 v242, v[0:1] offset:9120
	v_add_f32_e32 v0, v50, v57
	v_sub_f32_e32 v50, v50, v57
	v_add_f32_e32 v1, v47, v55
	v_sub_f32_e32 v47, v47, v55
	s_waitcnt lgkmcnt(8)
	v_fma_f32 v77, -0.5, v8, v4
	v_fmac_f32_e32 v3, -0.5, v0
	v_add_f32_e32 v0, v54, v67
	v_sub_f32_e32 v54, v54, v67
	v_add_f32_e32 v67, v48, v64
	v_add_f32_e32 v8, v46, v58
	v_fmamk_f32 v76, v47, 0x3f5db3d7, v3
	v_fmac_f32_e32 v33, -0.5, v0
	v_add_f32_e32 v0, v51, v68
	v_sub_f32_e32 v51, v51, v68
	v_add_f32_e32 v68, v42, v63
	v_fmac_f32_e32 v3, 0xbf5db3d7, v47
	v_fma_f32 v2, -0.5, v1, v2
	v_fmac_f32_e32 v27, -0.5, v0
	v_fmamk_f32 v0, v51, 0x3f5db3d7, v33
	v_fmac_f32_e32 v33, 0xbf5db3d7, v51
	v_fma_f32 v78, -0.5, v8, v5
	v_add_f32_e32 v4, v4, v44
	v_fmamk_f32 v75, v50, 0xbf5db3d7, v2
	v_mul_f32_e32 v55, 0xbf5db3d7, v0
	v_mul_f32_e32 v57, 0.5, v0
	v_fmamk_f32 v0, v54, 0xbf5db3d7, v27
	v_fmac_f32_e32 v27, 0x3f5db3d7, v54
	v_mul_f32_e32 v47, 0xbf5db3d7, v33
	v_mul_f32_e32 v33, -0.5, v33
	v_fmamk_f32 v81, v79, 0xbf5db3d7, v77
	v_fmac_f32_e32 v55, 0.5, v0
	v_fmac_f32_e32 v57, 0x3f5db3d7, v0
	v_add_f32_e32 v0, v64, v66
	v_sub_f32_e32 v64, v64, v66
	v_fmac_f32_e32 v47, -0.5, v27
	v_fmac_f32_e32 v33, 0x3f5db3d7, v27
	v_fmamk_f32 v82, v80, 0x3f5db3d7, v78
	v_fmac_f32_e32 v48, -0.5, v0
	v_add_f32_e32 v0, v63, v65
	v_sub_f32_e32 v63, v63, v65
	v_add_f32_e32 v1, v76, v57
	v_fmac_f32_e32 v2, 0x3f5db3d7, v50
	v_fmac_f32_e32 v77, 0x3f5db3d7, v79
	v_fmac_f32_e32 v42, -0.5, v0
	v_fmamk_f32 v0, v63, 0x3f5db3d7, v48
	v_fmac_f32_e32 v48, 0xbf5db3d7, v63
	v_fmac_f32_e32 v78, 0xbf5db3d7, v80
	v_add_f32_e32 v50, v67, v66
	s_waitcnt lgkmcnt(5)
	v_add_f32_e32 v54, v72, v25
	v_mul_f32_e32 v73, 0xbf5db3d7, v0
	v_mul_f32_e32 v74, 0.5, v0
	v_fmamk_f32 v0, v64, 0xbf5db3d7, v42
	v_fmac_f32_e32 v42, 0x3f5db3d7, v64
	v_mul_f32_e32 v27, 0xbf5db3d7, v48
	v_mul_f32_e32 v48, -0.5, v48
	v_add_f32_e32 v64, v71, v49
	v_fmac_f32_e32 v73, 0.5, v0
	v_fmac_f32_e32 v74, 0x3f5db3d7, v0
	v_fmac_f32_e32 v27, -0.5, v42
	v_fmac_f32_e32 v48, 0x3f5db3d7, v42
	v_add_f32_e32 v42, v4, v56
	v_add_f32_e32 v4, v5, v46
	;; [unrolled: 1-line block ×9, first 2 shown]
	ds_write2_b64 v144, v[0:1], v[8:9] offset0:164 offset1:224
	v_add_f32_e32 v0, v2, v47
	v_add_f32_e32 v1, v3, v33
	v_add_f32_e32 v8, v77, v27
	v_add_f32_e32 v9, v78, v48
	v_sub_f32_e32 v4, v42, v46
	v_sub_f32_e32 v5, v44, v50
	ds_write2_b64 v20, v[0:1], v[8:9] offset0:12 offset1:72
	v_sub_f32_e32 v0, v75, v55
	v_sub_f32_e32 v1, v76, v57
	;; [unrolled: 1-line block ×4, first 2 shown]
	ds_write_b64 v242, v[4:5] offset:9600
	v_add_nc_u32_e32 v4, 0x2c00, v242
	v_add_f32_e32 v55, v21, v62
	ds_write2_b64 v4, v[0:1], v[8:9] offset0:92 offset1:152
	v_sub_f32_e32 v1, v3, v33
	v_sub_f32_e32 v0, v2, v47
	;; [unrolled: 1-line block ×4, first 2 shown]
	v_add_f32_e32 v4, v45, v61
	v_add_f32_e32 v27, v19, v45
	v_add_f32_e32 v33, v15, v43
	v_add_f32_e32 v8, v42, v46
	ds_write2_b64 v12, v[0:1], v[2:3] offset0:68 offset1:128
	v_add_f32_e32 v0, v22, v29
	v_fmac_f32_e32 v19, -0.5, v4
	v_add_f32_e32 v4, v7, v22
	v_add_f32_e32 v1, v43, v60
	v_sub_f32_e32 v2, v43, v60
	v_fmac_f32_e32 v7, -0.5, v0
	v_sub_f32_e32 v0, v31, v26
	v_add_f32_e32 v4, v4, v29
	v_fmac_f32_e32 v15, -0.5, v1
	v_sub_f32_e32 v1, v45, v61
	v_fmamk_f32 v45, v2, 0x3f5db3d7, v19
	v_fmamk_f32 v48, v0, 0x3f5db3d7, v7
	v_fmac_f32_e32 v7, 0xbf5db3d7, v0
	v_add_f32_e32 v0, v31, v26
	v_add_f32_e32 v31, v6, v31
	v_fmac_f32_e32 v19, 0xbf5db3d7, v2
	v_fmamk_f32 v47, v1, 0xbf5db3d7, v15
	v_fmac_f32_e32 v15, 0x3f5db3d7, v1
	v_fma_f32 v6, -0.5, v0, v6
	v_add_f32_e32 v0, v25, v30
	v_mul_f32_e32 v2, -0.5, v19
	v_add_f32_e32 v9, v44, v50
	v_fmac_f32_e32 v72, -0.5, v0
	v_add_f32_e32 v0, v62, v38
	v_fmac_f32_e32 v2, 0x3f5db3d7, v15
	v_fmac_f32_e32 v21, -0.5, v0
	v_add_f32_e32 v0, v59, v34
	v_add_f32_e32 v1, v7, v2
	v_sub_f32_e32 v3, v7, v2
	v_add_f32_e32 v2, v49, v32
	v_fmac_f32_e32 v17, -0.5, v0
	v_sub_f32_e32 v0, v49, v32
	v_add_f32_e32 v49, v69, v23
	v_fma_f32 v65, -0.5, v2, v71
	v_mul_f32_e32 v2, 0xbf5db3d7, v19
	v_add_f32_e32 v19, v27, v61
	v_fmamk_f32 v57, v0, 0x3f5db3d7, v72
	v_fmac_f32_e32 v72, 0xbf5db3d7, v0
	v_sub_f32_e32 v0, v59, v34
	v_fmac_f32_e32 v2, -0.5, v15
	v_add_f32_e32 v15, v33, v60
	v_add_f32_e32 v27, v4, v19
	v_sub_f32_e32 v43, v4, v19
	v_fmamk_f32 v58, v0, 0x3f5db3d7, v21
	v_fmac_f32_e32 v21, 0xbf5db3d7, v0
	v_sub_f32_e32 v0, v62, v38
	v_mul_f32_e32 v4, 0xbf5db3d7, v45
	v_add_f32_e32 v19, v18, v37
	v_add_f32_e32 v33, v55, v38
	v_mul_f32_e32 v38, 0.5, v58
	v_fmamk_f32 v59, v0, 0xbf5db3d7, v17
	v_fmac_f32_e32 v17, 0x3f5db3d7, v0
	v_add_f32_e32 v0, v23, v35
	v_fmac_f32_e32 v4, 0.5, v47
	v_add_f32_e32 v19, v19, v52
	v_fmac_f32_e32 v38, 0x3f5db3d7, v59
	v_fma_f32 v62, -0.5, v0, v69
	v_add_f32_e32 v0, v24, v41
	v_fma_f32 v63, -0.5, v0, v70
	v_mul_f32_e32 v0, -0.5, v21
	v_fmac_f32_e32 v0, 0x3f5db3d7, v17
	v_add_f32_e32 v5, v72, v0
	v_sub_f32_e32 v7, v72, v0
	v_sub_f32_e32 v0, v22, v29
	v_fmamk_f32 v22, v0, 0xbf5db3d7, v6
	v_fmac_f32_e32 v6, 0x3f5db3d7, v0
	v_add_f32_e32 v44, v22, v4
	v_add_f32_e32 v0, v6, v2
	v_sub_f32_e32 v2, v6, v2
	v_add_f32_e32 v6, v31, v26
	v_sub_f32_e32 v46, v22, v4
	;; [unrolled: 2-line block ×4, first 2 shown]
	v_mul_f32_e32 v6, 0.5, v45
	v_add_f32_e32 v4, v4, v53
	v_add_f32_e32 v15, v51, v41
	v_fmac_f32_e32 v6, 0x3f5db3d7, v47
	v_sub_f32_e32 v51, v15, v19
	v_add_f32_e32 v45, v48, v6
	v_sub_f32_e32 v47, v48, v6
	v_add_f32_e32 v6, v49, v35
	v_add_f32_e32 v49, v15, v19
	v_sub_f32_e32 v19, v24, v41
	v_mul_f32_e32 v35, 0xbf5db3d7, v58
	v_add_f32_e32 v48, v6, v4
	v_sub_f32_e32 v50, v6, v4
	v_add_f32_e32 v4, v37, v52
	v_sub_f32_e32 v6, v39, v53
	v_fmac_f32_e32 v35, 0.5, v59
	v_fmac_f32_e32 v18, -0.5, v4
	v_add_f32_e32 v4, v39, v53
	v_fmamk_f32 v15, v6, 0x3f5db3d7, v18
	v_fmac_f32_e32 v13, -0.5, v4
	v_sub_f32_e32 v4, v37, v52
	v_fmac_f32_e32 v18, 0xbf5db3d7, v6
	v_fmamk_f32 v6, v19, 0xbf5db3d7, v62
	v_mul_f32_e32 v23, 0xbf5db3d7, v15
	v_mul_f32_e32 v15, 0.5, v15
	v_fmamk_f32 v24, v4, 0xbf5db3d7, v13
	v_fmac_f32_e32 v13, 0x3f5db3d7, v4
	v_mul_f32_e32 v4, 0xbf5db3d7, v18
	v_mul_f32_e32 v29, -0.5, v18
	v_fmac_f32_e32 v62, 0x3f5db3d7, v19
	v_fmac_f32_e32 v23, 0.5, v24
	v_fmac_f32_e32 v15, 0x3f5db3d7, v24
	v_fmamk_f32 v24, v22, 0x3f5db3d7, v63
	v_fmac_f32_e32 v63, 0xbf5db3d7, v22
	v_fmac_f32_e32 v4, -0.5, v13
	v_add_f32_e32 v18, v6, v23
	v_sub_f32_e32 v22, v6, v23
	v_add_f32_e32 v19, v24, v15
	v_sub_f32_e32 v23, v24, v15
	v_mul_f32_e32 v15, 0xbf5db3d7, v21
	v_sub_f32_e32 v6, v25, v30
	v_fmac_f32_e32 v29, 0x3f5db3d7, v13
	v_add_f32_e32 v13, v64, v32
	v_add_f32_e32 v32, v54, v30
	v_fmac_f32_e32 v15, -0.5, v17
	v_add_f32_e32 v17, v56, v34
	v_fmamk_f32 v21, v6, 0xbf5db3d7, v65
	v_fmac_f32_e32 v65, 0x3f5db3d7, v6
	v_add_f32_e32 v52, v62, v4
	v_add_f32_e32 v53, v63, v29
	v_sub_f32_e32 v25, v63, v29
	v_add_f32_e32 v29, v13, v17
	v_sub_f32_e32 v31, v13, v17
	v_add_nc_u32_e32 v13, 0x2400, v242
	v_sub_f32_e32 v24, v62, v4
	v_add_f32_e32 v4, v65, v15
	v_sub_f32_e32 v6, v65, v15
	v_add_f32_e32 v30, v32, v33
	v_sub_f32_e32 v32, v32, v33
	v_add_f32_e32 v33, v21, v35
	v_add_f32_e32 v34, v57, v38
	v_sub_f32_e32 v37, v21, v35
	v_sub_f32_e32 v38, v57, v38
	ds_write2_b64 v242, v[8:9], v[26:27] offset0:120 offset1:180
	ds_write2_b64 v10, v[44:45], v[18:19] offset0:28 offset1:88
	ds_write2_b64 v20, v[0:1], v[52:53] offset0:132 offset1:192
	ds_write2_b64 v13, v[42:43], v[50:51] offset0:108 offset1:168
	ds_write2_b64 v16, v[46:47], v[22:23] offset0:84 offset1:144
	ds_write2_b64 v12, v[2:3], v[24:25] offset0:188 offset1:248
	ds_write2_b64 v11, v[48:49], v[29:30] offset0:112 offset1:172
	ds_write_b64 v242, v[33:34] offset:5280
	ds_write_b64 v242, v[4:5] offset:8160
	;; [unrolled: 1-line block ×5, first 2 shown]
	s_waitcnt lgkmcnt(0)
	s_barrier
	buffer_gl0_inv
	ds_read2_b64 v[21:24], v242 offset1:60
	s_clause 0x1
	buffer_load_dword v7, off, s[20:23], 0 offset:324
	buffer_load_dword v8, off, s[20:23], 0 offset:328
	v_mad_u64_u32 v[33:34], null, s8, v184, 0
	v_mov_b32_e32 v13, v34
	v_mad_u64_u32 v[34:35], null, s9, v184, v[13:14]
	v_lshlrev_b64 v[33:34], 3, v[33:34]
	s_waitcnt vmcnt(0) lgkmcnt(0)
	v_mul_f32_e32 v0, v8, v22
	v_mul_f32_e32 v6, v8, v21
	v_fmac_f32_e32 v0, v7, v21
	v_fma_f32 v6, v7, v22, -v6
	v_cvt_f64_f32_e32 v[4:5], v0
	ds_read2_b64 v[0:3], v242 offset0:120 offset1:216
	v_cvt_f64_f32_e32 v[21:22], v6
	s_clause 0x3
	buffer_load_dword v6, off, s[20:23], 0 offset:180
	buffer_load_dword v7, off, s[20:23], 0 offset:184
	;; [unrolled: 1-line block ×4, first 2 shown]
	ds_read2_b64 v[29:32], v144 offset0:176 offset1:236
	ds_read2_b64 v[17:20], v20 offset0:96 offset1:156
	v_mul_f64 v[4:5], v[4:5], s[2:3]
	v_mul_f64 v[21:22], v[21:22], s[2:3]
	v_cvt_f32_f64_e32 v45, v[4:5]
	v_cvt_f32_f64_e32 v46, v[21:22]
	s_waitcnt vmcnt(3)
	v_mov_b32_e32 v15, v6
	s_waitcnt vmcnt(0) lgkmcnt(2)
	v_mul_f32_e32 v6, v9, v3
	v_mul_f32_e32 v7, v9, v2
	v_mad_u64_u32 v[25:26], null, s10, v15, 0
	v_fmac_f32_e32 v6, v8, v2
	v_fma_f32 v7, v8, v3, -v7
	v_cvt_f64_f32_e32 v[2:3], v6
	v_cvt_f64_f32_e32 v[37:38], v7
	ds_read2_b64 v[6:9], v10 offset0:40 offset1:136
	s_clause 0x1
	buffer_load_dword v41, off, s[20:23], 0 offset:308
	buffer_load_dword v42, off, s[20:23], 0 offset:312
	v_mov_b32_e32 v11, v26
	s_clause 0x1
	buffer_load_dword v43, off, s[20:23], 0 offset:300
	buffer_load_dword v44, off, s[20:23], 0 offset:304
	v_mad_u64_u32 v[10:11], null, s11, v15, v[11:12]
	v_mov_b32_e32 v26, v10
	v_lshlrev_b64 v[10:11], 3, v[25:26]
	v_mul_f64 v[25:26], v[2:3], s[2:3]
	v_mul_f64 v[37:38], v[37:38], s[2:3]
	s_waitcnt vmcnt(2) lgkmcnt(2)
	v_mul_f32_e32 v4, v42, v30
	v_mul_f32_e32 v5, v42, v29
	s_waitcnt vmcnt(0) lgkmcnt(0)
	v_mul_f32_e32 v3, v44, v9
	v_fmac_f32_e32 v4, v41, v29
	v_fma_f32 v2, v41, v30, -v5
	s_clause 0x1
	buffer_load_dword v41, off, s[20:23], 0 offset:292
	buffer_load_dword v42, off, s[20:23], 0 offset:296
	v_mul_f32_e32 v5, v44, v8
	v_fmac_f32_e32 v3, v43, v8
	v_cvt_f64_f32_e32 v[29:30], v4
	v_cvt_f64_f32_e32 v[47:48], v2
	v_fma_f32 v4, v43, v9, -v5
	v_add_nc_u32_e32 v5, 0x1c00, v242
	v_cvt_f64_f32_e32 v[8:9], v3
	v_cvt_f64_f32_e32 v[49:50], v4
	s_waitcnt vmcnt(0)
	v_mul_f32_e32 v13, v42, v18
	v_mul_f32_e32 v2, v42, v17
	v_fmac_f32_e32 v13, v41, v17
	v_fma_f32 v15, v41, v18, -v2
	ds_read2_b64 v[2:5], v5 offset0:88 offset1:184
	ds_read2_b64 v[41:44], v28 offset0:16 offset1:76
	s_clause 0x1
	buffer_load_dword v55, off, s[20:23], 0 offset:268
	buffer_load_dword v56, off, s[20:23], 0 offset:272
	v_cvt_f64_f32_e32 v[51:52], v13
	v_cvt_f64_f32_e32 v[53:54], v15
	v_add_co_u32 v15, s0, s6, v10
	v_add_co_ci_u32_e64 v17, s0, s7, v11, s0
	s_mul_i32 s6, s9, 0xfffff8a4
	v_add_co_u32 v21, s0, v15, v33
	v_cvt_f32_f64_e32 v33, v[25:26]
	v_mul_f64 v[25:26], v[29:30], s[2:3]
	v_mul_f64 v[29:30], v[47:48], s[2:3]
	;; [unrolled: 1-line block ×3, first 2 shown]
	v_add_co_ci_u32_e64 v22, s0, v17, v34, s0
	v_cvt_f32_f64_e32 v34, v[37:38]
	v_mul_f64 v[37:38], v[8:9], s[2:3]
	s_mul_i32 s0, s9, 0xd8
	s_add_i32 s1, s1, s0
	s_mul_i32 s0, s8, 0xd8
	v_mul_f64 v[49:50], v[51:52], s[2:3]
	v_mul_f64 v[51:52], v[53:54], s[2:3]
	s_clause 0x1
	buffer_load_dword v53, off, s[20:23], 0 offset:284
	buffer_load_dword v54, off, s[20:23], 0 offset:288
	ds_read2_b64 v[8:11], v28 offset0:136 offset1:232
	s_lshl_b64 s[4:5], s[0:1], 3
	s_mul_i32 s1, s9, 0xd80
	v_cvt_f32_f64_e32 v57, v[25:26]
	v_cvt_f32_f64_e32 v58, v[29:30]
	;; [unrolled: 1-line block ×3, first 2 shown]
	v_add_co_u32 v47, s0, v21, s4
	v_add_co_ci_u32_e64 v48, s0, s5, v22, s0
	v_cvt_f32_f64_e32 v29, v[37:38]
	v_cvt_f32_f64_e32 v37, v[49:50]
	;; [unrolled: 1-line block ×3, first 2 shown]
	s_waitcnt vmcnt(2) lgkmcnt(2)
	v_mul_f32_e32 v13, v56, v5
	v_mul_f32_e32 v18, v56, v4
	v_fmac_f32_e32 v13, v55, v4
	v_fma_f32 v18, v55, v5, -v18
	v_cvt_f64_f32_e32 v[4:5], v13
	s_waitcnt vmcnt(0) lgkmcnt(1)
	v_mul_f32_e32 v27, v54, v42
	v_mul_f32_e32 v28, v54, v41
	v_fmac_f32_e32 v27, v53, v41
	v_fma_f32 v28, v53, v42, -v28
	v_cvt_f64_f32_e32 v[41:42], v18
	v_mul_f64 v[4:5], v[4:5], s[2:3]
	v_cvt_f64_f32_e32 v[53:54], v27
	v_cvt_f64_f32_e32 v[55:56], v28
	ds_read2_b64 v[25:28], v16 offset0:192 offset1:252
	s_clause 0x1
	buffer_load_dword v49, off, s[20:23], 0 offset:276
	buffer_load_dword v50, off, s[20:23], 0 offset:280
	global_store_dwordx2 v[21:22], v[45:46], off
	s_clause 0x1
	buffer_load_dword v59, off, s[20:23], 0 offset:260
	buffer_load_dword v60, off, s[20:23], 0 offset:264
	global_store_dwordx2 v[47:48], v[33:34], off
	v_mul_f64 v[41:42], v[41:42], s[2:3]
	v_cvt_f32_f64_e32 v4, v[4:5]
	v_mul_f64 v[51:52], v[53:54], s[2:3]
	v_mul_f64 v[21:22], v[55:56], s[2:3]
	v_cvt_f32_f64_e32 v5, v[41:42]
	s_waitcnt vmcnt(2) lgkmcnt(1)
	v_mul_f32_e32 v13, v50, v11
	v_mul_f32_e32 v18, v50, v10
	v_fmac_f32_e32 v13, v49, v10
	v_fma_f32 v10, v49, v11, -v18
	v_add_co_u32 v49, s0, v47, s4
	s_waitcnt vmcnt(0) lgkmcnt(0)
	v_mul_f32_e32 v18, v60, v26
	v_cvt_f64_f32_e32 v[45:46], v13
	v_add_co_ci_u32_e64 v50, s0, s5, v48, s0
	v_mul_f32_e32 v11, v60, v25
	v_fmac_f32_e32 v18, v59, v25
	v_add_co_u32 v25, s0, v49, s4
	v_cvt_f64_f32_e32 v[53:54], v10
	v_fma_f32 v35, v59, v26, -v11
	v_add_co_ci_u32_e64 v26, s0, s5, v50, s0
	v_add_co_u32 v55, s0, v25, s4
	ds_read2_b64 v[10:13], v12 offset0:56 offset1:152
	v_add_co_ci_u32_e64 v56, s0, s5, v26, s0
	global_store_dwordx2 v[49:50], v[57:58], off
	global_store_dwordx2 v[25:26], v[29:30], off
	;; [unrolled: 1-line block ×3, first 2 shown]
	v_cvt_f32_f64_e32 v26, v[21:22]
	v_cvt_f64_f32_e32 v[47:48], v35
	v_cvt_f32_f64_e32 v25, v[51:52]
	v_cvt_f64_f32_e32 v[33:34], v18
	v_mul_f64 v[21:22], v[45:46], s[2:3]
	s_clause 0x4
	buffer_load_dword v45, off, s[20:23], 0 offset:252
	buffer_load_dword v46, off, s[20:23], 0 offset:256
	;; [unrolled: 1-line block ×5, first 2 shown]
	v_add_co_u32 v37, s0, v55, s4
	v_add_co_ci_u32_e64 v38, s0, s5, v56, s0
	v_mul_f64 v[29:30], v[53:54], s[2:3]
	v_add_co_u32 v53, s0, v37, s4
	v_add_co_ci_u32_e64 v54, s0, s5, v38, s0
	global_store_dwordx2 v[37:38], v[4:5], off
	v_mul_f64 v[41:42], v[47:48], s[2:3]
	global_store_dwordx2 v[53:54], v[25:26], off
	v_mul_f64 v[33:34], v[33:34], s[2:3]
	v_cvt_f32_f64_e32 v25, v[21:22]
	v_cvt_f32_f64_e32 v26, v[29:30]
	v_add_co_u32 v29, s0, v53, s4
	v_add_co_ci_u32_e64 v30, s0, s5, v54, s0
	v_cvt_f32_f64_e32 v33, v[33:34]
	v_cvt_f32_f64_e32 v34, v[41:42]
	s_waitcnt vmcnt(3) lgkmcnt(0)
	v_mul_f32_e32 v35, v46, v12
	v_mul_f32_e32 v18, v46, v13
	s_waitcnt vmcnt(1)
	v_mul_f32_e32 v39, v59, v24
	v_fma_f32 v35, v45, v13, -v35
	v_fmac_f32_e32 v18, v45, v12
	s_waitcnt vmcnt(0)
	v_mad_u64_u32 v[12:13], null, s8, v57, 0
	v_fmac_f32_e32 v39, v58, v23
	v_cvt_f64_f32_e32 v[51:52], v35
	v_cvt_f64_f32_e32 v[49:50], v18
	v_mul_f32_e32 v18, v59, v23
	ds_read2_b64 v[45:48], v144 offset0:20 offset1:80
	v_cvt_f64_f32_e32 v[55:56], v39
	v_mov_b32_e32 v4, v13
	v_fma_f32 v18, v58, v24, -v18
	v_mad_u64_u32 v[4:5], null, s9, v57, v[4:5]
	v_mov_b32_e32 v13, v4
	v_mul_f64 v[37:38], v[51:52], s[2:3]
	s_clause 0x3
	buffer_load_dword v51, off, s[20:23], 0 offset:236
	buffer_load_dword v52, off, s[20:23], 0 offset:240
	;; [unrolled: 1-line block ×4, first 2 shown]
	v_mul_f64 v[4:5], v[49:50], s[2:3]
	v_lshlrev_b64 v[12:13], 3, v[12:13]
	v_cvt_f64_f32_e32 v[49:50], v18
	v_mul_f64 v[41:42], v[55:56], s[2:3]
	v_mad_u64_u32 v[55:56], null, 0xd80, s8, v[29:30]
	v_add_co_u32 v12, s0, v15, v12
	v_add_co_ci_u32_e64 v13, s0, v17, v13, s0
	s_mul_hi_u32 s0, s8, 0xfffff8a4
	v_add_nc_u32_e32 v56, s1, v56
	s_sub_i32 s0, s0, s8
	s_add_i32 s7, s0, s6
	s_mul_i32 s6, s8, 0xfffff8a4
	s_lshl_b64 s[6:7], s[6:7], 3
	v_cvt_f32_f64_e32 v4, v[4:5]
	v_cvt_f32_f64_e32 v5, v[37:38]
	s_waitcnt vmcnt(2) lgkmcnt(0)
	v_mul_f32_e32 v21, v52, v46
	v_mul_f32_e32 v22, v52, v45
	s_waitcnt vmcnt(0)
	v_mul_f32_e32 v23, v58, v32
	v_fmac_f32_e32 v21, v51, v45
	v_fma_f32 v18, v51, v46, -v22
	v_fmac_f32_e32 v23, v57, v31
	v_mul_f32_e32 v22, v58, v31
	v_cvt_f64_f32_e32 v[45:46], v21
	v_cvt_f64_f32_e32 v[51:52], v18
	;; [unrolled: 1-line block ×3, first 2 shown]
	v_fma_f32 v18, v57, v32, -v22
	ds_read2_b64 v[21:24], v40 offset0:68 offset1:128
	global_store_dwordx2 v[29:30], v[25:26], off
	global_store_dwordx2 v[12:13], v[33:34], off
	s_clause 0x3
	buffer_load_dword v37, off, s[20:23], 0 offset:220
	buffer_load_dword v38, off, s[20:23], 0 offset:224
	;; [unrolled: 1-line block ×4, first 2 shown]
	v_cvt_f64_f32_e32 v[39:40], v18
	v_mul_f64 v[12:13], v[49:50], s[2:3]
	ds_read2_b64 v[29:32], v36 offset0:116 offset1:176
	v_cvt_f32_f64_e32 v25, v[41:42]
	v_mul_f64 v[33:34], v[45:46], s[2:3]
	v_mul_f64 v[41:42], v[51:52], s[2:3]
	;; [unrolled: 1-line block ×4, first 2 shown]
	v_cvt_f32_f64_e32 v33, v[33:34]
	v_cvt_f32_f64_e32 v34, v[41:42]
	;; [unrolled: 1-line block ×4, first 2 shown]
	s_waitcnt vmcnt(2) lgkmcnt(1)
	v_mul_f32_e32 v18, v38, v22
	v_mul_f32_e32 v26, v38, v21
	s_waitcnt vmcnt(0)
	v_mul_f32_e32 v35, v58, v20
	v_fmac_f32_e32 v18, v37, v21
	v_fma_f32 v26, v37, v22, -v26
	ds_read2_b64 v[37:40], v16 offset0:36 offset1:96
	s_clause 0x1
	buffer_load_dword v59, off, s[20:23], 0 offset:188
	buffer_load_dword v60, off, s[20:23], 0 offset:192
	v_fmac_f32_e32 v35, v57, v19
	v_mul_f32_e32 v16, v58, v19
	v_cvt_f64_f32_e32 v[51:52], v26
	v_cvt_f64_f32_e32 v[21:22], v18
	v_cvt_f32_f64_e32 v26, v[12:13]
	v_cvt_f64_f32_e32 v[53:54], v35
	v_fma_f32 v16, v57, v20, -v16
	v_add_co_u32 v12, s0, v55, s6
	v_add_co_ci_u32_e64 v13, s0, s7, v56, s0
	v_add_co_u32 v18, s0, v12, s4
	v_add_co_ci_u32_e64 v19, s0, s5, v13, s0
	;; [unrolled: 2-line block ×3, first 2 shown]
	v_mul_f64 v[49:50], v[51:52], s[2:3]
	v_mul_f64 v[45:46], v[21:22], s[2:3]
	;; [unrolled: 1-line block ×3, first 2 shown]
	v_cvt_f64_f32_e32 v[53:54], v16
	s_waitcnt vmcnt(0) lgkmcnt(1)
	v_mul_f32_e32 v35, v60, v30
	v_mul_f32_e32 v16, v60, v29
	s_clause 0x1
	buffer_load_dword v60, off, s[20:23], 0 offset:196
	buffer_load_dword v61, off, s[20:23], 0 offset:200
	v_fmac_f32_e32 v35, v59, v29
	v_fma_f32 v16, v59, v30, -v16
	v_cvt_f64_f32_e32 v[57:58], v35
	s_waitcnt vmcnt(0)
	v_mul_f32_e32 v20, v61, v44
	v_mul_f32_e32 v21, v61, v43
	s_clause 0x1
	buffer_load_dword v61, off, s[20:23], 0 offset:204
	buffer_load_dword v62, off, s[20:23], 0 offset:208
	global_store_dwordx2 v[55:56], v[4:5], off
	global_store_dwordx2 v[12:13], v[25:26], off
	;; [unrolled: 1-line block ×4, first 2 shown]
	v_fmac_f32_e32 v20, v60, v43
	v_fma_f32 v21, v60, v44, -v21
	v_cvt_f32_f64_e32 v4, v[45:46]
	v_cvt_f32_f64_e32 v33, v[51:52]
	v_mul_f64 v[12:13], v[53:54], s[2:3]
	v_mul_f64 v[41:42], v[57:58], s[2:3]
	v_cvt_f64_f32_e32 v[43:44], v21
	v_cvt_f32_f64_e32 v5, v[49:50]
	v_add_co_u32 v25, s0, v63, s4
	v_add_co_ci_u32_e64 v26, s0, s5, v64, s0
	v_cvt_f32_f64_e32 v41, v[41:42]
	v_mul_f64 v[43:44], v[43:44], s[2:3]
	s_waitcnt vmcnt(0) lgkmcnt(0)
	v_mul_f32_e32 v29, v62, v37
	v_mul_f32_e32 v22, v62, v38
	v_fma_f32 v35, v61, v38, -v29
	v_fmac_f32_e32 v22, v61, v37
	v_cvt_f64_f32_e32 v[37:38], v20
	ds_read2_b64 v[18:21], v14 offset0:84 offset1:144
	v_cvt_f64_f32_e32 v[29:30], v16
	v_cvt_f64_f32_e32 v[61:62], v35
	s_clause 0x1
	buffer_load_dword v34, off, s[20:23], 0 offset:168
	buffer_load_dword v35, off, s[20:23], 0 offset:172
	v_cvt_f64_f32_e32 v[59:60], v22
	s_clause 0x3
	buffer_load_dword v53, off, s[20:23], 0 offset:160
	buffer_load_dword v54, off, s[20:23], 0 offset:164
	;; [unrolled: 1-line block ×4, first 2 shown]
	v_mul_f64 v[37:38], v[37:38], s[2:3]
	v_mul_f64 v[29:30], v[29:30], s[2:3]
	;; [unrolled: 1-line block ×4, first 2 shown]
	v_cvt_f32_f64_e32 v37, v[37:38]
	v_cvt_f32_f64_e32 v38, v[43:44]
	v_cvt_f32_f64_e32 v42, v[29:30]
	v_cvt_f32_f64_e32 v44, v[49:50]
	v_cvt_f32_f64_e32 v43, v[45:46]
	s_waitcnt vmcnt(4)
	v_mul_f32_e32 v16, v35, v27
	v_mul_f32_e32 v14, v35, v28
	s_waitcnt vmcnt(2) lgkmcnt(0)
	v_mul_f32_e32 v22, v54, v19
	s_waitcnt vmcnt(0)
	v_mul_f32_e32 v35, v56, v1
	v_fma_f32 v16, v34, v28, -v16
	v_fmac_f32_e32 v14, v34, v27
	v_mul_f32_e32 v34, v54, v18
	v_fmac_f32_e32 v35, v55, v0
	v_mul_f32_e32 v0, v56, v0
	v_cvt_f64_f32_e32 v[51:52], v16
	v_cvt_f64_f32_e32 v[27:28], v14
	v_fma_f32 v14, v53, v19, -v34
	v_fmac_f32_e32 v22, v53, v18
	v_cvt_f32_f64_e32 v34, v[12:13]
	v_cvt_f64_f32_e32 v[53:54], v35
	v_cvt_f64_f32_e32 v[18:19], v14
	v_fma_f32 v14, v55, v1, -v0
	v_add_co_u32 v0, s0, v25, s4
	v_add_co_ci_u32_e64 v1, s0, s5, v26, s0
	v_cvt_f64_f32_e32 v[55:56], v14
	v_cvt_f64_f32_e32 v[12:13], v22
	v_add_co_u32 v29, s0, v0, s4
	v_add_co_ci_u32_e64 v30, s0, s5, v1, s0
	v_mul_f64 v[45:46], v[51:52], s[2:3]
	s_clause 0x3
	buffer_load_dword v51, off, s[20:23], 0 offset:144
	buffer_load_dword v52, off, s[20:23], 0 offset:148
	;; [unrolled: 1-line block ×4, first 2 shown]
	v_mul_f64 v[27:28], v[27:28], s[2:3]
	v_mul_f64 v[49:50], v[53:54], s[2:3]
	;; [unrolled: 1-line block ×4, first 2 shown]
	s_waitcnt vmcnt(2)
	v_mul_f32_e32 v14, v52, v48
	s_waitcnt vmcnt(0)
	v_mul_f32_e32 v22, v58, v7
	v_mul_f32_e32 v16, v52, v47
	v_mul_f32_e32 v35, v58, v6
	v_fmac_f32_e32 v14, v51, v47
	v_fmac_f32_e32 v22, v57, v6
	v_add_co_u32 v6, s0, v29, s4
	v_fma_f32 v16, v51, v48, -v16
	v_cvt_f64_f32_e32 v[51:52], v14
	v_fma_f32 v14, v57, v7, -v35
	v_add_co_ci_u32_e64 v7, s0, s5, v30, s0
	v_add_co_u32 v59, s0, v6, s4
	v_mul_f64 v[47:48], v[55:56], s[2:3]
	v_add_co_ci_u32_e64 v60, s0, s5, v7, s0
	global_store_dwordx2 v[25:26], v[4:5], off
	global_store_dwordx2 v[0:1], v[33:34], off
	global_store_dwordx2 v[29:30], v[41:42], off
	global_store_dwordx2 v[6:7], v[37:38], off
	global_store_dwordx2 v[59:60], v[43:44], off
	s_clause 0x1
	buffer_load_dword v37, off, s[20:23], 0 offset:84
	buffer_load_dword v38, off, s[20:23], 0 offset:88
	v_cvt_f64_f32_e32 v[55:56], v22
	v_cvt_f64_f32_e32 v[57:58], v14
	v_cvt_f32_f64_e32 v0, v[27:28]
	v_cvt_f32_f64_e32 v1, v[45:46]
	;; [unrolled: 1-line block ×5, first 2 shown]
	v_add_co_u32 v25, s0, v59, s4
	v_add_co_ci_u32_e64 v26, s0, s5, v60, s0
	v_mul_f64 v[12:13], v[51:52], s[2:3]
	v_add_co_u32 v33, s0, v25, s4
	v_add_co_ci_u32_e64 v34, s0, s5, v26, s0
	v_cvt_f64_f32_e32 v[53:54], v16
	v_cvt_f32_f64_e32 v7, v[47:48]
	v_add_co_u32 v22, s0, v33, s6
	v_mul_f64 v[27:28], v[55:56], s[2:3]
	v_mul_f64 v[29:30], v[57:58], s[2:3]
	global_store_dwordx2 v[25:26], v[0:1], off
	v_mul_f64 v[18:19], v[53:54], s[2:3]
	s_waitcnt vmcnt(0)
	v_mul_f32_e32 v14, v38, v24
	v_mul_f32_e32 v16, v38, v23
	v_fmac_f32_e32 v14, v37, v23
	v_add_co_ci_u32_e64 v23, s0, s7, v34, s0
	global_store_dwordx2 v[33:34], v[4:5], off
	global_store_dwordx2 v[22:23], v[6:7], off
	v_cvt_f32_f64_e32 v4, v[12:13]
	v_cvt_f32_f64_e32 v12, v[27:28]
	s_clause 0x2
	buffer_load_dword v43, off, s[20:23], 0 offset:72
	buffer_load_dword v26, off, s[20:23], 0 offset:124
	;; [unrolled: 1-line block ×3, first 2 shown]
	v_cvt_f32_f64_e32 v13, v[29:30]
	s_clause 0x9
	buffer_load_dword v29, off, s[20:23], 0 offset:116
	buffer_load_dword v30, off, s[20:23], 0 offset:120
	;; [unrolled: 1-line block ×10, first 2 shown]
	v_fma_f32 v16, v37, v24, -v16
	v_cvt_f32_f64_e32 v5, v[18:19]
	v_cvt_f64_f32_e32 v[0:1], v14
	v_add_co_u32 v6, s0, v22, s4
	v_cvt_f64_f32_e32 v[24:25], v16
	v_add_co_ci_u32_e64 v7, s0, s5, v23, s0
	v_add_co_u32 v22, s0, v6, s4
	v_add_co_ci_u32_e64 v23, s0, s5, v7, s0
	global_store_dwordx2 v[6:7], v[4:5], off
	global_store_dwordx2 v[22:23], v[12:13], off
	v_mul_f64 v[0:1], v[0:1], s[2:3]
	v_mad_u64_u32 v[6:7], null, 0xd80, s8, v[22:23]
	v_add_nc_u32_e32 v7, s1, v7
	v_cvt_f32_f64_e32 v0, v[0:1]
	s_waitcnt vmcnt(12)
	v_mad_u64_u32 v[18:19], null, s8, v43, 0
	s_waitcnt vmcnt(10)
	v_mul_f32_e32 v16, v27, v3
	v_mul_f32_e32 v14, v27, v2
	s_waitcnt vmcnt(6)
	v_mul_f32_e32 v28, v34, v8
	s_waitcnt vmcnt(2)
	v_mul_f32_e32 v37, v47, v10
	v_fmac_f32_e32 v16, v26, v2
	v_fma_f32 v26, v26, v3, -v14
	v_mul_f64 v[2:3], v[24:25], s[2:3]
	v_mov_b32_e32 v14, v19
	v_mul_f32_e32 v19, v30, v31
	v_cvt_f64_f32_e32 v[24:25], v16
	v_mul_f32_e32 v16, v30, v32
	v_mul_f32_e32 v30, v34, v9
	;; [unrolled: 1-line block ×3, first 2 shown]
	v_fma_f32 v19, v29, v32, -v19
	v_fma_f32 v32, v33, v9, -v28
	v_fmac_f32_e32 v16, v29, v31
	v_fmac_f32_e32 v30, v33, v8
	v_cvt_f64_f32_e32 v[26:27], v26
	v_cvt_f64_f32_e32 v[28:29], v19
	v_mul_f32_e32 v19, v47, v11
	v_cvt_f64_f32_e32 v[8:9], v16
	v_mul_f32_e32 v16, v42, v39
	v_fmac_f32_e32 v34, v41, v39
	s_waitcnt vmcnt(0)
	v_mul_f32_e32 v39, v45, v21
	v_mul_f32_e32 v38, v45, v20
	v_fmac_f32_e32 v19, v46, v10
	v_fma_f32 v16, v41, v40, -v16
	v_fma_f32 v37, v46, v11, -v37
	v_cvt_f64_f32_e32 v[30:31], v30
	v_cvt_f64_f32_e32 v[32:33], v32
	v_fmac_f32_e32 v39, v44, v20
	v_fma_f32 v41, v44, v21, -v38
	v_cvt_f64_f32_e32 v[34:35], v34
	v_cvt_f64_f32_e32 v[10:11], v16
	;; [unrolled: 1-line block ×6, first 2 shown]
	v_mul_f64 v[24:25], v[24:25], s[2:3]
	v_mul_f64 v[26:27], v[26:27], s[2:3]
	v_cvt_f32_f64_e32 v1, v[2:3]
	v_mul_f64 v[28:29], v[28:29], s[2:3]
	v_mul_f64 v[8:9], v[8:9], s[2:3]
	v_mad_u64_u32 v[43:44], null, s9, v43, v[14:15]
	v_mul_f64 v[2:3], v[30:31], s[2:3]
	v_mul_f64 v[4:5], v[32:33], s[2:3]
	v_mov_b32_e32 v19, v43
	v_mul_f64 v[12:13], v[34:35], s[2:3]
	v_mul_f64 v[10:11], v[10:11], s[2:3]
	;; [unrolled: 1-line block ×6, first 2 shown]
	v_cvt_f32_f64_e32 v24, v[24:25]
	v_cvt_f32_f64_e32 v25, v[26:27]
	v_add_co_u32 v26, s0, v6, s4
	v_lshlrev_b64 v[18:19], 3, v[18:19]
	v_add_co_ci_u32_e64 v27, s0, s5, v7, s0
	v_cvt_f32_f64_e32 v8, v[8:9]
	v_cvt_f32_f64_e32 v9, v[28:29]
	;; [unrolled: 1-line block ×4, first 2 shown]
	v_add_co_u32 v4, s0, v26, s4
	v_add_co_ci_u32_e64 v5, s0, s5, v27, s0
	v_cvt_f32_f64_e32 v12, v[12:13]
	v_cvt_f32_f64_e32 v13, v[10:11]
	v_add_co_u32 v14, s0, v15, v18
	v_cvt_f32_f64_e32 v10, v[20:21]
	v_cvt_f32_f64_e32 v11, v[22:23]
	;; [unrolled: 1-line block ×4, first 2 shown]
	v_add_co_ci_u32_e64 v15, s0, v17, v19, s0
	v_add_co_u32 v16, s0, v4, s4
	v_add_co_ci_u32_e64 v17, s0, s5, v5, s0
	global_store_dwordx2 v[14:15], v[0:1], off
	v_add_co_u32 v14, s0, v16, s4
	v_add_co_ci_u32_e64 v15, s0, s5, v17, s0
	global_store_dwordx2 v[6:7], v[24:25], off
	;; [unrolled: 3-line block ×3, first 2 shown]
	global_store_dwordx2 v[4:5], v[2:3], off
	global_store_dwordx2 v[16:17], v[12:13], off
	;; [unrolled: 1-line block ×4, first 2 shown]
	s_and_b32 exec_lo, exec_lo, vcc_lo
	s_cbranch_execz .LBB0_15
; %bb.14:
	s_clause 0x1
	buffer_load_dword v2, off, s[20:23], 0 offset:56
	buffer_load_dword v3, off, s[20:23], 0 offset:60
	v_add_co_u32 v0, vcc_lo, v0, s6
	v_add_co_ci_u32_e32 v1, vcc_lo, s7, v1, vcc_lo
	s_waitcnt vmcnt(0)
	global_load_dwordx2 v[6:7], v[2:3], off offset:1440
	v_add_nc_u32_e32 v2, 0x500, v242
	ds_read2_b64 v[2:5], v2 offset0:20 offset1:236
	s_waitcnt vmcnt(0) lgkmcnt(0)
	v_mul_f32_e32 v8, v3, v7
	v_mul_f32_e32 v7, v2, v7
	v_fmac_f32_e32 v8, v2, v6
	v_fma_f32 v6, v6, v3, -v7
	v_cvt_f64_f32_e32 v[2:3], v8
	v_cvt_f64_f32_e32 v[6:7], v6
	v_mul_f64 v[2:3], v[2:3], s[2:3]
	v_mul_f64 v[6:7], v[6:7], s[2:3]
	v_cvt_f32_f64_e32 v2, v[2:3]
	v_cvt_f32_f64_e32 v3, v[6:7]
	global_store_dwordx2 v[0:1], v[2:3], off
	s_clause 0x1
	buffer_load_dword v2, off, s[20:23], 0 offset:48
	buffer_load_dword v3, off, s[20:23], 0 offset:52
	s_waitcnt vmcnt(0)
	global_load_dwordx2 v[2:3], v[2:3], off offset:1120
	s_waitcnt vmcnt(0)
	v_mul_f32_e32 v6, v5, v3
	v_mul_f32_e32 v3, v4, v3
	v_fmac_f32_e32 v6, v4, v2
	v_fma_f32 v4, v2, v5, -v3
	v_cvt_f64_f32_e32 v[2:3], v6
	v_cvt_f64_f32_e32 v[4:5], v4
	v_mul_f64 v[2:3], v[2:3], s[2:3]
	v_mul_f64 v[4:5], v[4:5], s[2:3]
	v_cvt_f32_f64_e32 v2, v[2:3]
	v_cvt_f32_f64_e32 v3, v[4:5]
	v_add_co_u32 v4, vcc_lo, v0, s4
	v_add_co_ci_u32_e32 v5, vcc_lo, s5, v1, vcc_lo
	global_store_dwordx2 v[4:5], v[2:3], off
	s_clause 0x1
	buffer_load_dword v0, off, s[20:23], 0 offset:40
	buffer_load_dword v1, off, s[20:23], 0 offset:44
	v_add_co_u32 v4, vcc_lo, v4, s4
	v_add_co_ci_u32_e32 v5, vcc_lo, s5, v5, vcc_lo
	s_waitcnt vmcnt(0)
	global_load_dwordx2 v[6:7], v[0:1], off offset:800
	v_add_nc_u32_e32 v0, 0x1200, v242
	ds_read2_b64 v[0:3], v0 offset0:36 offset1:252
	s_waitcnt vmcnt(0) lgkmcnt(0)
	v_mul_f32_e32 v8, v1, v7
	v_mul_f32_e32 v7, v0, v7
	v_fmac_f32_e32 v8, v0, v6
	v_fma_f32 v6, v6, v1, -v7
	v_cvt_f64_f32_e32 v[0:1], v8
	v_cvt_f64_f32_e32 v[6:7], v6
	v_mul_f64 v[0:1], v[0:1], s[2:3]
	v_mul_f64 v[6:7], v[6:7], s[2:3]
	v_cvt_f32_f64_e32 v0, v[0:1]
	v_cvt_f32_f64_e32 v1, v[6:7]
	global_store_dwordx2 v[4:5], v[0:1], off
	s_clause 0x1
	buffer_load_dword v0, off, s[20:23], 0 offset:24
	buffer_load_dword v1, off, s[20:23], 0 offset:28
	v_add_co_u32 v4, vcc_lo, v4, s4
	v_add_co_ci_u32_e32 v5, vcc_lo, s5, v5, vcc_lo
	s_waitcnt vmcnt(0)
	global_load_dwordx2 v[0:1], v[0:1], off offset:480
	s_waitcnt vmcnt(0)
	v_mul_f32_e32 v6, v3, v1
	v_mul_f32_e32 v1, v2, v1
	v_fmac_f32_e32 v6, v2, v0
	v_fma_f32 v2, v0, v3, -v1
	v_cvt_f64_f32_e32 v[0:1], v6
	v_cvt_f64_f32_e32 v[2:3], v2
	v_mul_f64 v[0:1], v[0:1], s[2:3]
	v_mul_f64 v[2:3], v[2:3], s[2:3]
	v_cvt_f32_f64_e32 v0, v[0:1]
	v_cvt_f32_f64_e32 v1, v[2:3]
	global_store_dwordx2 v[4:5], v[0:1], off
	s_clause 0x1
	buffer_load_dword v9, off, s[20:23], 0 offset:16
	buffer_load_dword v10, off, s[20:23], 0 offset:20
	ds_read2_b64 v[0:3], v36 offset0:20 offset1:236
	v_add_co_u32 v4, vcc_lo, v4, s4
	v_add_co_ci_u32_e32 v5, vcc_lo, s5, v5, vcc_lo
	s_waitcnt vmcnt(0)
	global_load_dwordx2 v[6:7], v[9:10], off offset:160
	s_waitcnt vmcnt(0) lgkmcnt(0)
	v_mul_f32_e32 v8, v1, v7
	v_mul_f32_e32 v7, v0, v7
	v_fmac_f32_e32 v8, v0, v6
	v_fma_f32 v6, v6, v1, -v7
	v_cvt_f64_f32_e32 v[0:1], v8
	v_cvt_f64_f32_e32 v[6:7], v6
	v_mul_f64 v[0:1], v[0:1], s[2:3]
	v_mul_f64 v[6:7], v[6:7], s[2:3]
	v_cvt_f32_f64_e32 v0, v[0:1]
	v_cvt_f32_f64_e32 v1, v[6:7]
	global_store_dwordx2 v[4:5], v[0:1], off
	global_load_dwordx2 v[0:1], v[9:10], off offset:1888
	v_add_co_u32 v4, vcc_lo, v4, s4
	v_add_co_ci_u32_e32 v5, vcc_lo, s5, v5, vcc_lo
	s_waitcnt vmcnt(0)
	v_mul_f32_e32 v6, v3, v1
	v_mul_f32_e32 v1, v2, v1
	v_fmac_f32_e32 v6, v2, v0
	v_fma_f32 v2, v0, v3, -v1
	v_cvt_f64_f32_e32 v[0:1], v6
	v_cvt_f64_f32_e32 v[2:3], v2
	v_mul_f64 v[0:1], v[0:1], s[2:3]
	v_mul_f64 v[2:3], v[2:3], s[2:3]
	v_cvt_f32_f64_e32 v0, v[0:1]
	v_cvt_f32_f64_e32 v1, v[2:3]
	global_store_dwordx2 v[4:5], v[0:1], off
	s_clause 0x1
	buffer_load_dword v0, off, s[20:23], 0
	buffer_load_dword v1, off, s[20:23], 0 offset:4
	v_add_co_u32 v4, vcc_lo, v4, s4
	v_add_co_ci_u32_e32 v5, vcc_lo, s5, v5, vcc_lo
	s_waitcnt vmcnt(0)
	global_load_dwordx2 v[6:7], v[0:1], off offset:1568
	v_add_nc_u32_e32 v0, 0x2e00, v242
	ds_read2_b64 v[0:3], v0 offset0:4 offset1:220
	s_waitcnt vmcnt(0) lgkmcnt(0)
	v_mul_f32_e32 v8, v1, v7
	v_mul_f32_e32 v7, v0, v7
	v_fmac_f32_e32 v8, v0, v6
	v_fma_f32 v6, v6, v1, -v7
	v_cvt_f64_f32_e32 v[0:1], v8
	v_cvt_f64_f32_e32 v[6:7], v6
	v_mul_f64 v[0:1], v[0:1], s[2:3]
	v_mul_f64 v[6:7], v[6:7], s[2:3]
	v_cvt_f32_f64_e32 v0, v[0:1]
	v_cvt_f32_f64_e32 v1, v[6:7]
	global_store_dwordx2 v[4:5], v[0:1], off
	s_clause 0x1
	buffer_load_dword v0, off, s[20:23], 0 offset:32
	buffer_load_dword v1, off, s[20:23], 0 offset:36
	v_add_co_u32 v4, vcc_lo, v4, s4
	v_add_co_ci_u32_e32 v5, vcc_lo, s5, v5, vcc_lo
	s_waitcnt vmcnt(0)
	global_load_dwordx2 v[0:1], v[0:1], off offset:1248
	s_waitcnt vmcnt(0)
	v_mul_f32_e32 v6, v3, v1
	v_mul_f32_e32 v1, v2, v1
	v_fmac_f32_e32 v6, v2, v0
	v_fma_f32 v2, v0, v3, -v1
	v_cvt_f64_f32_e32 v[0:1], v6
	v_cvt_f64_f32_e32 v[2:3], v2
	v_mul_f64 v[0:1], v[0:1], s[2:3]
	v_mul_f64 v[2:3], v[2:3], s[2:3]
	v_cvt_f32_f64_e32 v0, v[0:1]
	v_cvt_f32_f64_e32 v1, v[2:3]
	global_store_dwordx2 v[4:5], v[0:1], off
	s_clause 0x1
	buffer_load_dword v0, off, s[20:23], 0 offset:8
	buffer_load_dword v1, off, s[20:23], 0 offset:12
	v_add_co_u32 v4, vcc_lo, v4, s4
	v_add_co_ci_u32_e32 v5, vcc_lo, s5, v5, vcc_lo
	s_waitcnt vmcnt(0)
	global_load_dwordx2 v[6:7], v[0:1], off offset:928
	v_add_nc_u32_e32 v0, 0x3b00, v242
	ds_read2_b64 v[0:3], v0 offset0:20 offset1:236
	s_waitcnt vmcnt(0) lgkmcnt(0)
	v_mul_f32_e32 v8, v1, v7
	v_mul_f32_e32 v7, v0, v7
	v_fmac_f32_e32 v8, v0, v6
	v_fma_f32 v6, v6, v1, -v7
	v_cvt_f64_f32_e32 v[0:1], v8
	v_cvt_f64_f32_e32 v[6:7], v6
	v_mul_f64 v[0:1], v[0:1], s[2:3]
	v_mul_f64 v[6:7], v[6:7], s[2:3]
	v_cvt_f32_f64_e32 v0, v[0:1]
	v_cvt_f32_f64_e32 v1, v[6:7]
	global_store_dwordx2 v[4:5], v[0:1], off
	s_clause 0x1
	buffer_load_dword v0, off, s[20:23], 0 offset:64
	buffer_load_dword v1, off, s[20:23], 0 offset:68
	s_waitcnt vmcnt(0)
	global_load_dwordx2 v[0:1], v[0:1], off offset:608
	s_waitcnt vmcnt(0)
	v_mul_f32_e32 v6, v3, v1
	v_mul_f32_e32 v1, v2, v1
	v_fmac_f32_e32 v6, v2, v0
	v_fma_f32 v2, v0, v3, -v1
	v_cvt_f64_f32_e32 v[0:1], v6
	v_cvt_f64_f32_e32 v[2:3], v2
	v_mul_f64 v[0:1], v[0:1], s[2:3]
	v_mul_f64 v[2:3], v[2:3], s[2:3]
	v_cvt_f32_f64_e32 v0, v[0:1]
	v_cvt_f32_f64_e32 v1, v[2:3]
	v_add_co_u32 v2, vcc_lo, v4, s4
	v_add_co_ci_u32_e32 v3, vcc_lo, s5, v5, vcc_lo
	global_store_dwordx2 v[2:3], v[0:1], off
.LBB0_15:
	s_endpgm
	.section	.rodata,"a",@progbits
	.p2align	6, 0x0
	.amdhsa_kernel bluestein_single_fwd_len2160_dim1_sp_op_CI_CI
		.amdhsa_group_segment_fixed_size 17280
		.amdhsa_private_segment_fixed_size 520
		.amdhsa_kernarg_size 104
		.amdhsa_user_sgpr_count 6
		.amdhsa_user_sgpr_private_segment_buffer 1
		.amdhsa_user_sgpr_dispatch_ptr 0
		.amdhsa_user_sgpr_queue_ptr 0
		.amdhsa_user_sgpr_kernarg_segment_ptr 1
		.amdhsa_user_sgpr_dispatch_id 0
		.amdhsa_user_sgpr_flat_scratch_init 0
		.amdhsa_user_sgpr_private_segment_size 0
		.amdhsa_wavefront_size32 1
		.amdhsa_uses_dynamic_stack 0
		.amdhsa_system_sgpr_private_segment_wavefront_offset 1
		.amdhsa_system_sgpr_workgroup_id_x 1
		.amdhsa_system_sgpr_workgroup_id_y 0
		.amdhsa_system_sgpr_workgroup_id_z 0
		.amdhsa_system_sgpr_workgroup_info 0
		.amdhsa_system_vgpr_workitem_id 0
		.amdhsa_next_free_vgpr 256
		.amdhsa_next_free_sgpr 24
		.amdhsa_reserve_vcc 1
		.amdhsa_reserve_flat_scratch 0
		.amdhsa_float_round_mode_32 0
		.amdhsa_float_round_mode_16_64 0
		.amdhsa_float_denorm_mode_32 3
		.amdhsa_float_denorm_mode_16_64 3
		.amdhsa_dx10_clamp 1
		.amdhsa_ieee_mode 1
		.amdhsa_fp16_overflow 0
		.amdhsa_workgroup_processor_mode 1
		.amdhsa_memory_ordered 1
		.amdhsa_forward_progress 0
		.amdhsa_shared_vgpr_count 0
		.amdhsa_exception_fp_ieee_invalid_op 0
		.amdhsa_exception_fp_denorm_src 0
		.amdhsa_exception_fp_ieee_div_zero 0
		.amdhsa_exception_fp_ieee_overflow 0
		.amdhsa_exception_fp_ieee_underflow 0
		.amdhsa_exception_fp_ieee_inexact 0
		.amdhsa_exception_int_div_zero 0
	.end_amdhsa_kernel
	.text
.Lfunc_end0:
	.size	bluestein_single_fwd_len2160_dim1_sp_op_CI_CI, .Lfunc_end0-bluestein_single_fwd_len2160_dim1_sp_op_CI_CI
                                        ; -- End function
	.section	.AMDGPU.csdata,"",@progbits
; Kernel info:
; codeLenInByte = 35824
; NumSgprs: 26
; NumVgprs: 256
; ScratchSize: 520
; MemoryBound: 0
; FloatMode: 240
; IeeeMode: 1
; LDSByteSize: 17280 bytes/workgroup (compile time only)
; SGPRBlocks: 3
; VGPRBlocks: 31
; NumSGPRsForWavesPerEU: 26
; NumVGPRsForWavesPerEU: 256
; Occupancy: 4
; WaveLimiterHint : 1
; COMPUTE_PGM_RSRC2:SCRATCH_EN: 1
; COMPUTE_PGM_RSRC2:USER_SGPR: 6
; COMPUTE_PGM_RSRC2:TRAP_HANDLER: 0
; COMPUTE_PGM_RSRC2:TGID_X_EN: 1
; COMPUTE_PGM_RSRC2:TGID_Y_EN: 0
; COMPUTE_PGM_RSRC2:TGID_Z_EN: 0
; COMPUTE_PGM_RSRC2:TIDIG_COMP_CNT: 0
	.text
	.p2alignl 6, 3214868480
	.fill 48, 4, 3214868480
	.type	__hip_cuid_3b291d10ab9cab51,@object ; @__hip_cuid_3b291d10ab9cab51
	.section	.bss,"aw",@nobits
	.globl	__hip_cuid_3b291d10ab9cab51
__hip_cuid_3b291d10ab9cab51:
	.byte	0                               ; 0x0
	.size	__hip_cuid_3b291d10ab9cab51, 1

	.ident	"AMD clang version 19.0.0git (https://github.com/RadeonOpenCompute/llvm-project roc-6.4.0 25133 c7fe45cf4b819c5991fe208aaa96edf142730f1d)"
	.section	".note.GNU-stack","",@progbits
	.addrsig
	.addrsig_sym __hip_cuid_3b291d10ab9cab51
	.amdgpu_metadata
---
amdhsa.kernels:
  - .args:
      - .actual_access:  read_only
        .address_space:  global
        .offset:         0
        .size:           8
        .value_kind:     global_buffer
      - .actual_access:  read_only
        .address_space:  global
        .offset:         8
        .size:           8
        .value_kind:     global_buffer
      - .actual_access:  read_only
        .address_space:  global
        .offset:         16
        .size:           8
        .value_kind:     global_buffer
      - .actual_access:  read_only
        .address_space:  global
        .offset:         24
        .size:           8
        .value_kind:     global_buffer
      - .actual_access:  read_only
        .address_space:  global
        .offset:         32
        .size:           8
        .value_kind:     global_buffer
      - .offset:         40
        .size:           8
        .value_kind:     by_value
      - .address_space:  global
        .offset:         48
        .size:           8
        .value_kind:     global_buffer
      - .address_space:  global
        .offset:         56
        .size:           8
        .value_kind:     global_buffer
      - .address_space:  global
        .offset:         64
        .size:           8
        .value_kind:     global_buffer
      - .address_space:  global
        .offset:         72
        .size:           8
        .value_kind:     global_buffer
      - .offset:         80
        .size:           4
        .value_kind:     by_value
      - .address_space:  global
        .offset:         88
        .size:           8
        .value_kind:     global_buffer
      - .address_space:  global
        .offset:         96
        .size:           8
        .value_kind:     global_buffer
    .group_segment_fixed_size: 17280
    .kernarg_segment_align: 8
    .kernarg_segment_size: 104
    .language:       OpenCL C
    .language_version:
      - 2
      - 0
    .max_flat_workgroup_size: 60
    .name:           bluestein_single_fwd_len2160_dim1_sp_op_CI_CI
    .private_segment_fixed_size: 520
    .sgpr_count:     26
    .sgpr_spill_count: 0
    .symbol:         bluestein_single_fwd_len2160_dim1_sp_op_CI_CI.kd
    .uniform_work_group_size: 1
    .uses_dynamic_stack: false
    .vgpr_count:     256
    .vgpr_spill_count: 129
    .wavefront_size: 32
    .workgroup_processor_mode: 1
amdhsa.target:   amdgcn-amd-amdhsa--gfx1030
amdhsa.version:
  - 1
  - 2
...

	.end_amdgpu_metadata
